;; amdgpu-corpus repo=ROCm/rocFFT kind=compiled arch=gfx1100 opt=O3
	.text
	.amdgcn_target "amdgcn-amd-amdhsa--gfx1100"
	.amdhsa_code_object_version 6
	.protected	bluestein_single_fwd_len1600_dim1_dp_op_CI_CI ; -- Begin function bluestein_single_fwd_len1600_dim1_dp_op_CI_CI
	.globl	bluestein_single_fwd_len1600_dim1_dp_op_CI_CI
	.p2align	8
	.type	bluestein_single_fwd_len1600_dim1_dp_op_CI_CI,@function
bluestein_single_fwd_len1600_dim1_dp_op_CI_CI: ; @bluestein_single_fwd_len1600_dim1_dp_op_CI_CI
; %bb.0:
	s_load_b128 s[16:19], s[0:1], 0x28
	v_mul_u32_u24_e32 v1, 0x290, v0
	v_mov_b32_e32 v9, 0
	s_mov_b32 s2, exec_lo
	s_delay_alu instid0(VALU_DEP_2) | instskip(NEXT) | instid1(VALU_DEP_1)
	v_lshrrev_b32_e32 v3, 16, v1
	v_lshl_add_u32 v8, s15, 1, v3
	s_waitcnt lgkmcnt(0)
	s_delay_alu instid0(VALU_DEP_1)
	v_cmpx_gt_u64_e64 s[16:17], v[8:9]
	s_cbranch_execz .LBB0_23
; %bb.1:
	s_clause 0x1
	s_load_b128 s[4:7], s[0:1], 0x18
	s_load_b64 s[12:13], s[0:1], 0x0
	v_mul_lo_u16 v1, 0x64, v3
	v_and_b32_e32 v3, 1, v3
	s_delay_alu instid0(VALU_DEP_2) | instskip(NEXT) | instid1(VALU_DEP_1)
	v_sub_nc_u16 v2, v0, v1
	v_and_b32_e32 v38, 0xffff, v2
	s_delay_alu instid0(VALU_DEP_1)
	v_or_b32_e32 v20, 0x280, v38
	v_or_b32_e32 v14, 0x500, v38
	v_lshlrev_b32_e32 v36, 4, v38
	s_waitcnt lgkmcnt(0)
	s_load_b128 s[8:11], s[4:5], 0x0
	s_clause 0x1
	global_load_b128 v[72:75], v36, s[12:13]
	global_load_b128 v[92:95], v36, s[12:13] offset:2560
	v_lshlrev_b32_e32 v6, 4, v20
	v_lshlrev_b32_e32 v21, 4, v14
	s_clause 0x1
	scratch_store_b32 off, v20, off offset:32
	scratch_store_b32 off, v6, off offset:212
	s_clause 0x1
	global_load_b128 v[96:99], v6, s[12:13]
	global_load_b128 v[100:103], v21, s[12:13]
	v_mov_b32_e32 v6, v8
	s_clause 0x2
	scratch_store_b32 off, v21, off offset:208
	scratch_store_b64 off, v[6:7], off offset:16
	scratch_store_b32 off, v14, off offset:44
	s_waitcnt lgkmcnt(0)
	v_mad_u64_u32 v[0:1], null, s10, v8, 0
	s_mul_i32 s3, s9, 0xa0
	s_mul_hi_u32 s4, s8, 0xa0
	s_delay_alu instid0(SALU_CYCLE_1) | instskip(NEXT) | instid1(VALU_DEP_1)
	s_add_i32 s3, s4, s3
	v_mad_u64_u32 v[6:7], null, s11, v8, v[1:2]
	s_delay_alu instid0(VALU_DEP_1) | instskip(SKIP_1) | instid1(VALU_DEP_2)
	v_mov_b32_e32 v1, v6
	v_mad_u64_u32 v[4:5], null, s8, v38, 0
	v_lshlrev_b64 v[0:1], 4, v[0:1]
	s_delay_alu instid0(VALU_DEP_2) | instskip(SKIP_1) | instid1(VALU_DEP_2)
	v_mad_u64_u32 v[7:8], null, s9, v38, v[5:6]
	v_mad_u64_u32 v[8:9], null, s8, v20, 0
	v_mov_b32_e32 v5, v7
	v_add_co_u32 v252, s2, s12, v36
	s_delay_alu instid0(VALU_DEP_1) | instskip(NEXT) | instid1(VALU_DEP_3)
	v_add_co_ci_u32_e64 v253, null, s13, 0, s2
	v_lshlrev_b64 v[4:5], 4, v[4:5]
	s_delay_alu instid0(VALU_DEP_3) | instskip(NEXT) | instid1(VALU_DEP_3)
	v_add_co_u32 v33, vcc_lo, 0x1000, v252
	v_add_co_ci_u32_e32 v34, vcc_lo, 0, v253, vcc_lo
	v_add_co_u32 v31, vcc_lo, 0x3000, v252
	v_add_co_ci_u32_e32 v32, vcc_lo, 0, v253, vcc_lo
	;; [unrolled: 2-line block ×3, first 2 shown]
	v_add_co_u32 v25, vcc_lo, s18, v0
	v_mad_u64_u32 v[6:7], null, s8, v14, 0
	v_add_co_ci_u32_e32 v26, vcc_lo, s19, v1, vcc_lo
	s_delay_alu instid0(VALU_DEP_3) | instskip(SKIP_1) | instid1(VALU_DEP_2)
	v_add_co_u32 v0, vcc_lo, v25, v4
	s_mul_i32 s2, s8, 0xa0
	v_add_co_ci_u32_e32 v1, vcc_lo, v26, v5, vcc_lo
	s_lshl_b64 s[14:15], s[2:3], 4
	s_delay_alu instid0(VALU_DEP_4) | instskip(SKIP_1) | instid1(VALU_DEP_3)
	v_mov_b32_e32 v4, v7
	v_add_co_u32 v12, vcc_lo, v0, s14
	v_add_co_ci_u32_e32 v13, vcc_lo, s15, v1, vcc_lo
	s_delay_alu instid0(VALU_DEP_3) | instskip(NEXT) | instid1(VALU_DEP_3)
	v_mad_u64_u32 v[10:11], null, s9, v14, v[4:5]
	v_add_co_u32 v14, vcc_lo, v12, s14
	s_delay_alu instid0(VALU_DEP_3) | instskip(SKIP_1) | instid1(VALU_DEP_2)
	v_add_co_ci_u32_e32 v15, vcc_lo, s15, v13, vcc_lo
	s_mul_i32 s2, s9, 0x1400
	v_add_co_u32 v16, vcc_lo, v14, s14
	v_mov_b32_e32 v4, v9
	s_delay_alu instid0(VALU_DEP_3) | instskip(SKIP_2) | instid1(VALU_DEP_4)
	v_add_co_ci_u32_e32 v17, vcc_lo, s15, v15, vcc_lo
	v_mov_b32_e32 v7, v10
	v_add_co_u32 v29, vcc_lo, 0x5000, v252
	v_mad_u64_u32 v[18:19], null, s9, v20, v[4:5]
	s_delay_alu instid0(VALU_DEP_4) | instskip(NEXT) | instid1(VALU_DEP_4)
	v_mad_u64_u32 v[19:20], null, 0x1400, s8, v[16:17]
	v_lshlrev_b64 v[4:5], 4, v[6:7]
	v_add_co_ci_u32_e32 v30, vcc_lo, 0, v253, vcc_lo
	global_load_b128 v[104:107], v[33:34], off offset:1024
	v_dual_mov_b32 v9, v18 :: v_dual_add_nc_u32 v20, s2, v20
	v_add_co_u32 v10, vcc_lo, v25, v4
	v_add_co_ci_u32_e32 v11, vcc_lo, v26, v5, vcc_lo
	v_add_co_u32 v21, vcc_lo, v19, s14
	s_delay_alu instid0(VALU_DEP_4) | instskip(SKIP_1) | instid1(VALU_DEP_3)
	v_add_co_ci_u32_e32 v22, vcc_lo, s15, v20, vcc_lo
	v_lshlrev_b64 v[8:9], 4, v[8:9]
	v_add_co_u32 v23, vcc_lo, v21, s14
	s_delay_alu instid0(VALU_DEP_3)
	v_add_co_ci_u32_e32 v24, vcc_lo, s15, v22, vcc_lo
	global_load_b128 v[4:7], v[0:1], off
	v_add_co_u32 v25, vcc_lo, v25, v8
	v_mad_u64_u32 v[0:1], null, 0x1400, s8, v[23:24]
	v_add_co_ci_u32_e32 v26, vcc_lo, v26, v9, vcc_lo
	s_clause 0x3
	global_load_b128 v[8:11], v[10:11], off
	global_load_b128 v[40:43], v[12:13], off
	global_load_b128 v[44:47], v[14:15], off
	global_load_b128 v[48:51], v[16:17], off
	scratch_store_b64 off, v[33:34], off offset:36 ; 8-byte Folded Spill
	s_clause 0x1
	global_load_b128 v[124:127], v[33:34], off offset:3584
	global_load_b128 v[108:111], v[31:32], off offset:512
	s_clause 0x1
	global_load_b128 v[52:55], v[25:26], off
	global_load_b128 v[56:59], v[19:20], off
	global_load_b128 v[60:63], v[21:22], off
	v_add_nc_u32_e32 v1, s2, v1
	s_clause 0x1
	scratch_store_b64 off, v[31:32], off offset:24
	scratch_store_b64 off, v[27:28], off
	s_clause 0x1
	global_load_b128 v[120:123], v[31:32], off offset:3072
	global_load_b128 v[112:115], v[27:28], off offset:1536
	global_load_b128 v[64:67], v[23:24], off
	scratch_store_b64 off, v[29:30], off offset:8 ; 8-byte Folded Spill
	global_load_b128 v[116:119], v[29:30], off offset:2560
	global_load_b128 v[68:71], v[0:1], off
	v_cmp_eq_u32_e32 vcc_lo, 1, v3
	s_waitcnt vmcnt(19)
	scratch_store_b128 off, v[72:75], off offset:64 ; 16-byte Folded Spill
	s_waitcnt vmcnt(18)
	scratch_store_b128 off, v[92:95], off offset:48 ; 16-byte Folded Spill
	;; [unrolled: 2-line block ×5, first 2 shown]
	s_waitcnt vmcnt(14)
	v_mul_f64 v[12:13], v[6:7], v[74:75]
	v_mul_f64 v[14:15], v[4:5], v[74:75]
	s_waitcnt vmcnt(13)
	v_mul_f64 v[16:17], v[10:11], v[102:103]
	s_waitcnt vmcnt(8)
	scratch_store_b128 off, v[108:111], off offset:128 ; 16-byte Folded Spill
	v_mul_f64 v[20:21], v[42:43], v[94:95]
	v_mul_f64 v[22:23], v[40:41], v[94:95]
	;; [unrolled: 1-line block ×6, first 2 shown]
	s_waitcnt vmcnt(4)
	v_mul_f64 v[80:81], v[62:63], v[122:123]
	v_mul_f64 v[82:83], v[60:61], v[122:123]
	s_waitcnt vmcnt(2)
	v_mul_f64 v[84:85], v[66:67], v[114:115]
	v_mul_f64 v[86:87], v[64:65], v[114:115]
	;; [unrolled: 1-line block ×3, first 2 shown]
	s_waitcnt vmcnt(0)
	v_mul_f64 v[88:89], v[70:71], v[118:119]
	v_mul_f64 v[90:91], v[68:69], v[118:119]
	;; [unrolled: 1-line block ×6, first 2 shown]
	s_clause 0x3
	scratch_store_b128 off, v[124:127], off offset:192
	scratch_store_b128 off, v[120:123], off offset:176
	;; [unrolled: 1-line block ×4, first 2 shown]
	s_load_b64 s[10:11], s[0:1], 0x38
	s_load_b128 s[4:7], s[6:7], 0x0
	v_fma_f64 v[4:5], v[4:5], v[72:73], v[12:13]
	v_fma_f64 v[6:7], v[6:7], v[72:73], -v[14:15]
	v_fma_f64 v[72:73], v[8:9], v[100:101], v[16:17]
	v_fma_f64 v[40:41], v[40:41], v[92:93], v[20:21]
	v_fma_f64 v[42:43], v[42:43], v[92:93], -v[22:23]
	v_fma_f64 v[74:75], v[10:11], v[100:101], -v[18:19]
	v_fma_f64 v[44:45], v[44:45], v[104:105], v[24:25]
	v_fma_f64 v[46:47], v[46:47], v[104:105], -v[26:27]
	v_fma_f64 v[48:49], v[48:49], v[124:125], v[28:29]
	v_fma_f64 v[60:61], v[60:61], v[120:121], v[80:81]
	v_fma_f64 v[62:63], v[62:63], v[120:121], -v[82:83]
	v_fma_f64 v[64:65], v[64:65], v[112:113], v[84:85]
	v_fma_f64 v[66:67], v[66:67], v[112:113], -v[86:87]
	v_fma_f64 v[50:51], v[50:51], v[124:125], -v[30:31]
	v_fma_f64 v[68:69], v[68:69], v[116:117], v[88:89]
	v_fma_f64 v[70:71], v[70:71], v[116:117], -v[90:91]
	v_fma_f64 v[52:53], v[52:53], v[96:97], v[32:33]
	;; [unrolled: 2-line block ×3, first 2 shown]
	v_fma_f64 v[58:59], v[58:59], v[108:109], -v[78:79]
	v_cndmask_b32_e64 v35, 0, 0x6400, vcc_lo
	v_cmp_gt_u16_e32 vcc_lo, 60, v2
	s_delay_alu instid0(VALU_DEP_2)
	v_add_nc_u32_e32 v8, v35, v36
	ds_store_b128 v8, v[4:7]
	ds_store_b128 v8, v[40:43] offset:2560
	ds_store_b128 v8, v[44:47] offset:5120
	;; [unrolled: 1-line block ×9, first 2 shown]
	s_and_saveexec_b32 s3, vcc_lo
	s_cbranch_execz .LBB0_3
; %bb.2:
	scratch_load_b64 v[21:22], off, off offset:36 ; 8-byte Folded Reload
	v_mad_u64_u32 v[9:10], null, 0xffffac40, s8, v[0:1]
	s_mul_i32 s2, s9, 0xffffac40
	global_load_b128 v[0:3], v[252:253], off offset:1600
	s_sub_i32 s2, s2, s8
	s_delay_alu instid0(SALU_CYCLE_1) | instskip(SKIP_1) | instid1(VALU_DEP_1)
	v_add_nc_u32_e32 v10, s2, v10
	v_add_co_u32 v11, s2, v9, s14
	v_add_co_ci_u32_e64 v12, s2, s15, v10, s2
	s_delay_alu instid0(VALU_DEP_2) | instskip(NEXT) | instid1(VALU_DEP_1)
	v_add_co_u32 v13, s2, v11, s14
	v_add_co_ci_u32_e64 v14, s2, s15, v12, s2
	s_delay_alu instid0(VALU_DEP_2) | instskip(NEXT) | instid1(VALU_DEP_1)
	v_add_co_u32 v15, s2, v13, s14
	v_add_co_ci_u32_e64 v16, s2, s15, v14, s2
	v_add_co_u32 v17, s2, 0x2000, v252
	s_delay_alu instid0(VALU_DEP_1) | instskip(NEXT) | instid1(VALU_DEP_4)
	v_add_co_ci_u32_e64 v18, s2, 0, v253, s2
	v_add_co_u32 v19, s2, v15, s14
	s_delay_alu instid0(VALU_DEP_1)
	v_add_co_ci_u32_e64 v20, s2, s15, v16, s2
	s_waitcnt vmcnt(1)
	global_load_b128 v[4:7], v[21:22], off offset:64
	global_load_b128 v[40:43], v[9:10], off
	global_load_b128 v[44:47], v[11:12], off
	;; [unrolled: 1-line block ×5, first 2 shown]
	v_add_co_u32 v9, s2, v19, s14
	s_delay_alu instid0(VALU_DEP_1)
	v_add_co_ci_u32_e64 v10, s2, s15, v20, s2
	s_clause 0x1
	global_load_b128 v[60:63], v[17:18], off offset:1088
	global_load_b128 v[64:67], v[17:18], off offset:3648
	v_add_co_u32 v11, s2, v9, s14
	global_load_b128 v[68:71], v[9:10], off
	global_load_b128 v[72:75], v[21:22], off offset:2624
	scratch_load_b64 v[13:14], off, off offset:24 ; 8-byte Folded Reload
	v_add_co_ci_u32_e64 v12, s2, s15, v10, s2
	v_add_co_u32 v9, s2, v11, s14
	s_waitcnt vmcnt(0)
	global_load_b128 v[76:79], v[13:14], off offset:2112
	global_load_b128 v[80:83], v[11:12], off
	scratch_load_b64 v[15:16], off, off     ; 8-byte Folded Reload
	v_add_co_ci_u32_e64 v10, s2, s15, v12, s2
	v_mul_f64 v[17:18], v[54:55], v[62:63]
	v_mul_f64 v[19:20], v[52:53], v[62:63]
	;; [unrolled: 1-line block ×4, first 2 shown]
	s_waitcnt vmcnt(0)
	global_load_b128 v[84:87], v[15:16], off offset:576
	global_load_b128 v[88:91], v[9:10], off
	v_add_co_u32 v9, s2, v9, s14
	s_delay_alu instid0(VALU_DEP_1) | instskip(SKIP_1) | instid1(VALU_DEP_1)
	v_add_co_ci_u32_e64 v10, s2, s15, v10, s2
	v_add_co_u32 v11, s2, 0x6000, v252
	v_add_co_ci_u32_e64 v12, s2, 0, v253, s2
	s_delay_alu instid0(VALU_DEP_4) | instskip(NEXT) | instid1(VALU_DEP_1)
	v_add_co_u32 v13, s2, v9, s14
	v_add_co_ci_u32_e64 v14, s2, s15, v10, s2
	global_load_b128 v[92:95], v[15:16], off offset:3136
	global_load_b128 v[96:99], v[9:10], off
	scratch_load_b64 v[9:10], off, off offset:8 ; 8-byte Folded Reload
	v_mul_f64 v[15:16], v[48:49], v[74:75]
	v_mul_f64 v[25:26], v[70:71], v[78:79]
	v_mul_f64 v[27:28], v[68:69], v[78:79]
	s_waitcnt vmcnt(0)
	s_clause 0x1
	global_load_b128 v[100:103], v[9:10], off offset:1600
	global_load_b128 v[104:107], v[11:12], off offset:64
	global_load_b128 v[108:111], v[13:14], off
	v_mul_f64 v[9:10], v[42:43], v[2:3]
	v_mul_f64 v[2:3], v[40:41], v[2:3]
	;; [unrolled: 1-line block ×9, first 2 shown]
	v_fma_f64 v[40:41], v[40:41], v[0:1], v[9:10]
	v_fma_f64 v[42:43], v[42:43], v[0:1], -v[2:3]
	v_fma_f64 v[0:1], v[44:45], v[4:5], v[11:12]
	v_fma_f64 v[2:3], v[46:47], v[4:5], -v[6:7]
	;; [unrolled: 2-line block ×8, first 2 shown]
	s_waitcnt vmcnt(2)
	v_mul_f64 v[66:67], v[98:99], v[102:103]
	v_mul_f64 v[74:75], v[96:97], v[102:103]
	s_waitcnt vmcnt(0)
	v_mul_f64 v[78:79], v[110:111], v[106:107]
	v_mul_f64 v[86:87], v[108:109], v[106:107]
	s_delay_alu instid0(VALU_DEP_4) | instskip(NEXT) | instid1(VALU_DEP_4)
	v_fma_f64 v[64:65], v[96:97], v[100:101], v[66:67]
	v_fma_f64 v[66:67], v[98:99], v[100:101], -v[74:75]
	s_delay_alu instid0(VALU_DEP_4) | instskip(NEXT) | instid1(VALU_DEP_4)
	v_fma_f64 v[68:69], v[108:109], v[104:105], v[78:79]
	v_fma_f64 v[70:71], v[110:111], v[104:105], -v[86:87]
	ds_store_b128 v8, v[40:43] offset:1600
	ds_store_b128 v8, v[0:3] offset:4160
	;; [unrolled: 1-line block ×10, first 2 shown]
.LBB0_3:
	s_or_b32 exec_lo, exec_lo, s3
	s_waitcnt lgkmcnt(0)
	s_waitcnt_vscnt null, 0x0
	s_barrier
	buffer_gl0_inv
	ds_load_b128 v[52:55], v8
	ds_load_b128 v[56:59], v8 offset:2560
	ds_load_b128 v[112:115], v8 offset:5120
	;; [unrolled: 1-line block ×9, first 2 shown]
                                        ; implicit-def: $vgpr72_vgpr73
                                        ; implicit-def: $vgpr76_vgpr77
                                        ; implicit-def: $vgpr80_vgpr81
                                        ; implicit-def: $vgpr84_vgpr85
                                        ; implicit-def: $vgpr88_vgpr89
                                        ; implicit-def: $vgpr64_vgpr65
                                        ; implicit-def: $vgpr60_vgpr61
                                        ; implicit-def: $vgpr48_vgpr49
                                        ; implicit-def: $vgpr44_vgpr45
                                        ; implicit-def: $vgpr40_vgpr41
	s_and_saveexec_b32 s2, vcc_lo
	s_cbranch_execz .LBB0_5
; %bb.4:
	ds_load_b128 v[40:43], v8 offset:1600
	ds_load_b128 v[44:47], v8 offset:4160
	;; [unrolled: 1-line block ×10, first 2 shown]
.LBB0_5:
	s_or_b32 exec_lo, exec_lo, s2
	s_waitcnt lgkmcnt(7)
	v_add_f64 v[0:1], v[52:53], v[112:113]
	v_add_f64 v[2:3], v[54:55], v[114:115]
	s_waitcnt lgkmcnt(1)
	v_add_f64 v[23:24], v[112:113], v[104:105]
	v_add_f64 v[25:26], v[112:113], -v[104:105]
	v_add_f64 v[29:30], v[104:105], -v[108:109]
	;; [unrolled: 1-line block ×3, first 2 shown]
	v_add_f64 v[4:5], v[116:117], v[108:109]
	v_add_f64 v[9:10], v[118:119], -v[110:111]
	v_add_f64 v[6:7], v[118:119], v[110:111]
	v_add_f64 v[15:16], v[116:117], -v[108:109]
	v_add_f64 v[21:22], v[114:115], -v[106:107]
	v_add_f64 v[27:28], v[114:115], v[106:107]
	v_add_f64 v[33:34], v[106:107], -v[110:111]
	v_add_f64 v[11:12], v[112:113], -v[116:117]
	v_add_f64 v[13:14], v[116:117], -v[112:113]
	v_add_f64 v[112:113], v[102:103], v[70:71]
	s_waitcnt lgkmcnt(0)
	v_add_f64 v[126:127], v[98:99], -v[94:95]
	s_mov_b32 s14, 0x134454ff
	s_mov_b32 s15, 0x3fee6f0e
	v_add_f64 v[17:18], v[114:115], -v[118:119]
	v_add_f64 v[19:20], v[118:119], -v[114:115]
	;; [unrolled: 1-line block ×3, first 2 shown]
	v_add_f64 v[124:125], v[96:97], v[92:93]
	v_add_f64 v[128:129], v[96:97], -v[92:93]
	s_mov_b32 s2, 0x4755a5e
	s_mov_b32 s3, 0x3fe2cf23
	;; [unrolled: 1-line block ×4, first 2 shown]
	v_add_f64 v[120:121], v[98:99], -v[102:103]
	v_add_f64 v[122:123], v[98:99], v[94:95]
	s_mov_b32 s16, 0x372fe950
	s_mov_b32 s17, 0x3fd3c6ef
	;; [unrolled: 1-line block ×6, first 2 shown]
	s_barrier
	v_add_f64 v[0:1], v[0:1], v[116:117]
	v_add_f64 v[2:3], v[2:3], v[118:119]
	v_add_f64 v[116:117], v[100:101], -v[68:69]
	v_add_f64 v[118:119], v[96:97], -v[100:101]
	v_fma_f64 v[23:24], v[23:24], -0.5, v[52:53]
	buffer_gl0_inv
	v_fma_f64 v[130:131], v[4:5], -0.5, v[52:53]
	s_load_b64 s[0:1], s[0:1], 0x8
	v_fma_f64 v[132:133], v[6:7], -0.5, v[54:55]
	v_add_co_u32 v192, null, 0x64, v38
	v_fma_f64 v[27:28], v[27:28], -0.5, v[54:55]
	v_add_f64 v[11:12], v[11:12], v[29:30]
	v_add_f64 v[13:14], v[13:14], v[31:32]
	v_fma_f64 v[112:113], v[112:113], -0.5, v[58:59]
	v_add_f64 v[17:18], v[17:18], v[33:34]
	v_fma_f64 v[124:125], v[124:125], -0.5, v[56:57]
	v_fma_f64 v[122:123], v[122:123], -0.5, v[58:59]
	v_add_f64 v[0:1], v[0:1], v[108:109]
	v_add_f64 v[2:3], v[2:3], v[110:111]
	v_add_f64 v[108:109], v[110:111], -v[106:107]
	v_add_f64 v[110:111], v[100:101], v[68:69]
	v_fma_f64 v[33:34], v[128:129], s[18:19], v[112:113]
	v_fma_f64 v[31:32], v[116:117], s[14:15], v[122:123]
	v_add_f64 v[104:105], v[0:1], v[104:105]
	v_add_f64 v[0:1], v[56:57], v[96:97]
	;; [unrolled: 1-line block ×4, first 2 shown]
	v_fma_f64 v[110:111], v[110:111], -0.5, v[56:57]
	v_add_f64 v[19:20], v[19:20], v[108:109]
	v_fma_f64 v[33:34], v[116:117], s[8:9], v[33:34]
	v_fma_f64 v[31:32], v[128:129], s[8:9], v[31:32]
	v_add_f64 v[0:1], v[0:1], v[100:101]
	v_add_f64 v[100:101], v[100:101], -v[96:97]
	v_add_f64 v[2:3], v[2:3], v[102:103]
	v_add_f64 v[96:97], v[92:93], -v[68:69]
	v_fma_f64 v[29:30], v[126:127], s[14:15], v[110:111]
	v_add_f64 v[102:103], v[102:103], -v[98:99]
	v_add_f64 v[98:99], v[94:95], -v[70:71]
	v_add_f64 v[0:1], v[0:1], v[68:69]
	v_add_f64 v[68:69], v[68:69], -v[92:93]
	v_add_f64 v[2:3], v[2:3], v[70:71]
	v_add_f64 v[70:71], v[70:71], -v[94:95]
	v_fma_f64 v[29:30], v[114:115], s[2:3], v[29:30]
	v_add_f64 v[92:93], v[0:1], v[92:93]
	s_delay_alu instid0(VALU_DEP_4) | instskip(NEXT) | instid1(VALU_DEP_2)
	v_add_f64 v[94:95], v[2:3], v[94:95]
	v_add_f64 v[0:1], v[104:105], v[92:93]
	v_add_f64 v[4:5], v[104:105], -v[92:93]
	v_add_f64 v[104:105], v[118:119], v[96:97]
	s_delay_alu instid0(VALU_DEP_4) | instskip(SKIP_2) | instid1(VALU_DEP_4)
	v_add_f64 v[2:3], v[106:107], v[94:95]
	v_add_f64 v[6:7], v[106:107], -v[94:95]
	v_add_f64 v[106:107], v[120:121], v[98:99]
	v_fma_f64 v[29:30], v[104:105], s[16:17], v[29:30]
	s_delay_alu instid0(VALU_DEP_2) | instskip(NEXT) | instid1(VALU_DEP_2)
	v_fma_f64 v[33:34], v[106:107], s[16:17], v[33:34]
	v_mul_f64 v[52:53], v[29:30], s[20:21]
	v_mul_f64 v[29:30], v[29:30], s[8:9]
	s_delay_alu instid0(VALU_DEP_2) | instskip(NEXT) | instid1(VALU_DEP_2)
	v_fma_f64 v[56:57], v[33:34], s[2:3], v[52:53]
	v_fma_f64 v[29:30], v[33:34], s[20:21], v[29:30]
	;; [unrolled: 1-line block ×4, first 2 shown]
	s_delay_alu instid0(VALU_DEP_2) | instskip(NEXT) | instid1(VALU_DEP_2)
	v_fma_f64 v[33:34], v[9:10], s[2:3], v[33:34]
	v_fma_f64 v[52:53], v[15:16], s[8:9], v[52:53]
	s_delay_alu instid0(VALU_DEP_2) | instskip(NEXT) | instid1(VALU_DEP_2)
	v_fma_f64 v[33:34], v[11:12], s[16:17], v[33:34]
	v_fma_f64 v[58:59], v[17:18], s[16:17], v[52:53]
	s_delay_alu instid0(VALU_DEP_2) | instskip(NEXT) | instid1(VALU_DEP_2)
	v_add_f64 v[52:53], v[33:34], v[56:57]
	v_add_f64 v[54:55], v[58:59], v[29:30]
	v_add_f64 v[56:57], v[33:34], -v[56:57]
	v_add_f64 v[58:59], v[58:59], -v[29:30]
	v_add_f64 v[29:30], v[100:101], v[68:69]
	v_add_f64 v[33:34], v[102:103], v[70:71]
	v_fma_f64 v[68:69], v[114:115], s[18:19], v[124:125]
	s_delay_alu instid0(VALU_DEP_2) | instskip(NEXT) | instid1(VALU_DEP_2)
	v_fma_f64 v[31:32], v[33:34], s[16:17], v[31:32]
	v_fma_f64 v[68:69], v[126:127], s[2:3], v[68:69]
	s_delay_alu instid0(VALU_DEP_2) | instskip(NEXT) | instid1(VALU_DEP_2)
	v_mul_f64 v[70:71], v[31:32], s[14:15]
	v_fma_f64 v[68:69], v[29:30], s[16:17], v[68:69]
	s_delay_alu instid0(VALU_DEP_1) | instskip(SKIP_2) | instid1(VALU_DEP_2)
	v_fma_f64 v[92:93], v[68:69], s[16:17], v[70:71]
	v_mul_f64 v[68:69], v[68:69], s[18:19]
	v_fma_f64 v[70:71], v[15:16], s[14:15], v[27:28]
	v_fma_f64 v[31:32], v[31:32], s[16:17], v[68:69]
	;; [unrolled: 1-line block ×3, first 2 shown]
	s_delay_alu instid0(VALU_DEP_3) | instskip(SKIP_1) | instid1(VALU_DEP_3)
	v_fma_f64 v[70:71], v[25:26], s[8:9], v[70:71]
	v_fma_f64 v[23:24], v[9:10], s[14:15], v[23:24]
	;; [unrolled: 1-line block ×3, first 2 shown]
	s_delay_alu instid0(VALU_DEP_3) | instskip(NEXT) | instid1(VALU_DEP_3)
	v_fma_f64 v[96:97], v[19:20], s[16:17], v[70:71]
	v_fma_f64 v[23:24], v[21:22], s[8:9], v[23:24]
	;; [unrolled: 1-line block ×3, first 2 shown]
	s_delay_alu instid0(VALU_DEP_4) | instskip(NEXT) | instid1(VALU_DEP_4)
	v_fma_f64 v[94:95], v[13:14], s[16:17], v[68:69]
	v_add_f64 v[70:71], v[96:97], v[31:32]
	s_delay_alu instid0(VALU_DEP_4)
	v_fma_f64 v[13:14], v[13:14], s[16:17], v[23:24]
	v_fma_f64 v[23:24], v[15:16], s[18:19], v[27:28]
	;; [unrolled: 1-line block ×3, first 2 shown]
	v_add_f64 v[68:69], v[94:95], v[92:93]
	v_add_f64 v[92:93], v[94:95], -v[92:93]
	v_add_f64 v[94:95], v[96:97], -v[31:32]
	v_fma_f64 v[31:32], v[114:115], s[14:15], v[124:125]
	v_fma_f64 v[23:24], v[25:26], s[2:3], v[23:24]
	;; [unrolled: 1-line block ×3, first 2 shown]
	s_delay_alu instid0(VALU_DEP_3) | instskip(NEXT) | instid1(VALU_DEP_3)
	v_fma_f64 v[31:32], v[126:127], s[8:9], v[31:32]
	v_fma_f64 v[19:20], v[19:20], s[16:17], v[23:24]
	s_delay_alu instid0(VALU_DEP_2) | instskip(SKIP_1) | instid1(VALU_DEP_2)
	v_fma_f64 v[29:30], v[29:30], s[16:17], v[31:32]
	v_fma_f64 v[31:32], v[116:117], s[18:19], v[122:123]
	v_mul_f64 v[23:24], v[29:30], s[16:17]
	s_delay_alu instid0(VALU_DEP_2) | instskip(NEXT) | instid1(VALU_DEP_1)
	v_fma_f64 v[31:32], v[128:129], s[2:3], v[31:32]
	v_fma_f64 v[31:32], v[33:34], s[16:17], v[31:32]
	s_delay_alu instid0(VALU_DEP_1) | instskip(NEXT) | instid1(VALU_DEP_4)
	v_mul_f64 v[27:28], v[31:32], s[16:17]
	v_fma_f64 v[23:24], v[31:32], s[14:15], -v[23:24]
	s_delay_alu instid0(VALU_DEP_2) | instskip(NEXT) | instid1(VALU_DEP_2)
	v_fma_f64 v[27:28], v[29:30], s[18:19], -v[27:28]
	v_add_f64 v[96:97], v[13:14], v[23:24]
	v_add_f64 v[100:101], v[13:14], -v[23:24]
	v_fma_f64 v[13:14], v[126:127], s[18:19], v[110:111]
	v_fma_f64 v[23:24], v[25:26], s[14:15], v[132:133]
	v_add_f64 v[30:31], v[72:73], -v[80:81]
	v_add_f64 v[98:99], v[19:20], v[27:28]
	v_add_f64 v[102:103], v[19:20], -v[27:28]
	v_fma_f64 v[19:20], v[128:129], s[14:15], v[112:113]
	v_fma_f64 v[13:14], v[114:115], s[8:9], v[13:14]
	;; [unrolled: 1-line block ×3, first 2 shown]
	v_add_f64 v[22:23], v[62:63], -v[90:91]
	v_add_f64 v[26:27], v[74:75], -v[82:83]
	v_fma_f64 v[19:20], v[116:117], s[2:3], v[19:20]
	v_fma_f64 v[13:14], v[104:105], s[16:17], v[13:14]
	;; [unrolled: 1-line block ×3, first 2 shown]
	s_delay_alu instid0(VALU_DEP_3) | instskip(NEXT) | instid1(VALU_DEP_3)
	v_fma_f64 v[19:20], v[106:107], s[16:17], v[19:20]
	v_mul_f64 v[15:16], v[13:14], s[20:21]
	s_delay_alu instid0(VALU_DEP_2) | instskip(NEXT) | instid1(VALU_DEP_2)
	v_mul_f64 v[17:18], v[19:20], s[20:21]
	v_fma_f64 v[15:16], v[19:20], s[2:3], -v[15:16]
	v_add_f64 v[20:21], v[72:73], v[80:81]
	s_delay_alu instid0(VALU_DEP_3) | instskip(NEXT) | instid1(VALU_DEP_3)
	v_fma_f64 v[13:14], v[13:14], s[8:9], -v[17:18]
	v_add_f64 v[104:105], v[9:10], v[15:16]
	v_add_f64 v[108:109], v[9:10], -v[15:16]
	v_mul_lo_u16 v9, v38, 10
	v_add_f64 v[16:17], v[86:87], -v[78:79]
	v_add_f64 v[18:19], v[78:79], -v[86:87]
	v_fma_f64 v[20:21], v[20:21], -0.5, v[44:45]
	s_delay_alu instid0(VALU_DEP_4) | instskip(NEXT) | instid1(VALU_DEP_1)
	v_and_b32_e32 v9, 0xffff, v9
	v_lshl_add_u32 v9, v9, 4, v35
	v_add_f64 v[106:107], v[11:12], v[13:14]
	v_add_f64 v[110:111], v[11:12], -v[13:14]
	v_add_f64 v[10:11], v[82:83], -v[90:91]
	;; [unrolled: 1-line block ×4, first 2 shown]
	ds_store_b128 v9, v[0:3]
	ds_store_b128 v9, v[4:7] offset:80
	ds_store_b128 v9, v[52:55] offset:16
	;; [unrolled: 1-line block ×9, first 2 shown]
	v_add_f64 v[0:1], v[60:61], -v[72:73]
	v_add_f64 v[2:3], v[88:89], -v[80:81]
	;; [unrolled: 1-line block ×4, first 2 shown]
	v_fma_f64 v[24:25], v[22:23], s[18:19], v[20:21]
	v_fma_f64 v[20:21], v[22:23], s[14:15], v[20:21]
	v_add_f64 v[52:53], v[60:61], -v[88:89]
	v_add_f64 v[56:57], v[50:51], -v[86:87]
	;; [unrolled: 1-line block ×5, first 2 shown]
	v_add_f64 v[0:1], v[2:3], v[0:1]
	v_add_f64 v[2:3], v[72:73], -v[60:61]
	v_fma_f64 v[24:25], v[26:27], s[8:9], v[24:25]
	v_fma_f64 v[20:21], v[26:27], s[2:3], v[20:21]
	s_delay_alu instid0(VALU_DEP_3) | instskip(SKIP_1) | instid1(VALU_DEP_4)
	v_add_f64 v[2:3], v[4:5], v[2:3]
	v_add_f64 v[4:5], v[62:63], -v[74:75]
	v_fma_f64 v[24:25], v[0:1], s[16:17], v[24:25]
	s_delay_alu instid0(VALU_DEP_4) | instskip(NEXT) | instid1(VALU_DEP_3)
	v_fma_f64 v[20:21], v[0:1], s[16:17], v[20:21]
	v_add_f64 v[4:5], v[6:7], v[4:5]
	v_add_f64 v[6:7], v[74:75], -v[62:63]
	s_delay_alu instid0(VALU_DEP_1) | instskip(SKIP_1) | instid1(VALU_DEP_1)
	v_add_f64 v[6:7], v[10:11], v[6:7]
	v_add_f64 v[10:11], v[48:49], -v[64:65]
	v_add_f64 v[10:11], v[12:13], v[10:11]
	v_add_f64 v[12:13], v[64:65], -v[48:49]
	s_delay_alu instid0(VALU_DEP_1) | instskip(SKIP_1) | instid1(VALU_DEP_1)
	v_add_f64 v[12:13], v[14:15], v[12:13]
	v_add_f64 v[14:15], v[50:51], -v[66:67]
	v_add_f64 v[14:15], v[16:17], v[14:15]
	v_add_f64 v[16:17], v[66:67], -v[50:51]
	s_delay_alu instid0(VALU_DEP_1) | instskip(SKIP_1) | instid1(VALU_DEP_1)
	v_add_f64 v[16:17], v[18:19], v[16:17]
	v_add_f64 v[18:19], v[88:89], v[60:61]
	v_fma_f64 v[18:19], v[18:19], -0.5, v[44:45]
	s_delay_alu instid0(VALU_DEP_1) | instskip(SKIP_1) | instid1(VALU_DEP_2)
	v_fma_f64 v[28:29], v[26:27], s[14:15], v[18:19]
	v_fma_f64 v[18:19], v[26:27], s[18:19], v[18:19]
	;; [unrolled: 1-line block ×3, first 2 shown]
	s_delay_alu instid0(VALU_DEP_2) | instskip(SKIP_2) | instid1(VALU_DEP_4)
	v_fma_f64 v[18:19], v[22:23], s[2:3], v[18:19]
	v_add_f64 v[22:23], v[74:75], v[82:83]
	v_add_f64 v[28:29], v[90:91], v[62:63]
	v_fma_f64 v[26:27], v[2:3], s[16:17], v[26:27]
	s_delay_alu instid0(VALU_DEP_4) | instskip(NEXT) | instid1(VALU_DEP_4)
	v_fma_f64 v[18:19], v[2:3], s[16:17], v[18:19]
	v_fma_f64 v[22:23], v[22:23], -0.5, v[46:47]
	s_delay_alu instid0(VALU_DEP_4) | instskip(NEXT) | instid1(VALU_DEP_2)
	v_fma_f64 v[28:29], v[28:29], -0.5, v[46:47]
	v_fma_f64 v[54:55], v[52:53], s[18:19], v[22:23]
	s_delay_alu instid0(VALU_DEP_2) | instskip(SKIP_2) | instid1(VALU_DEP_3)
	v_fma_f64 v[32:33], v[30:31], s[14:15], v[28:29]
	v_fma_f64 v[28:29], v[30:31], s[18:19], v[28:29]
	;; [unrolled: 1-line block ×4, first 2 shown]
	s_delay_alu instid0(VALU_DEP_3) | instskip(SKIP_1) | instid1(VALU_DEP_4)
	v_fma_f64 v[28:29], v[52:53], s[2:3], v[28:29]
	v_fma_f64 v[52:53], v[30:31], s[8:9], v[54:55]
	;; [unrolled: 1-line block ×3, first 2 shown]
	v_add_f64 v[30:31], v[76:77], v[64:65]
	v_add_f64 v[54:55], v[84:85], v[48:49]
	v_fma_f64 v[32:33], v[6:7], s[16:17], v[32:33]
	v_fma_f64 v[28:29], v[6:7], s[16:17], v[28:29]
	;; [unrolled: 1-line block ×4, first 2 shown]
	v_fma_f64 v[30:31], v[30:31], -0.5, v[40:41]
	v_fma_f64 v[54:55], v[54:55], -0.5, v[40:41]
	s_delay_alu instid0(VALU_DEP_4) | instskip(NEXT) | instid1(VALU_DEP_3)
	v_mul_f64 v[2:3], v[52:53], s[2:3]
	v_fma_f64 v[58:59], v[56:57], s[14:15], v[30:31]
	v_fma_f64 v[30:31], v[56:57], s[18:19], v[30:31]
	s_delay_alu instid0(VALU_DEP_4)
	v_fma_f64 v[70:71], v[68:69], s[18:19], v[54:55]
	v_fma_f64 v[54:55], v[68:69], s[14:15], v[54:55]
	;; [unrolled: 1-line block ×6, first 2 shown]
	v_add_f64 v[70:71], v[86:87], v[50:51]
	v_fma_f64 v[54:55], v[56:57], s[8:9], v[54:55]
	v_add_f64 v[56:57], v[78:79], v[66:67]
	v_fma_f64 v[0:1], v[10:11], s[16:17], v[58:59]
	v_fma_f64 v[4:5], v[12:13], s[16:17], v[68:69]
	v_fma_f64 v[70:71], v[70:71], -0.5, v[42:43]
	v_fma_f64 v[6:7], v[12:13], s[16:17], v[54:55]
	v_fma_f64 v[56:57], v[56:57], -0.5, v[42:43]
	v_add_f64 v[68:69], v[0:1], -v[2:3]
	s_delay_alu instid0(VALU_DEP_4) | instskip(SKIP_1) | instid1(VALU_DEP_4)
	v_fma_f64 v[98:99], v[96:97], s[14:15], v[70:71]
	v_fma_f64 v[70:71], v[96:97], s[18:19], v[70:71]
	;; [unrolled: 1-line block ×4, first 2 shown]
	s_delay_alu instid0(VALU_DEP_4) | instskip(NEXT) | instid1(VALU_DEP_4)
	v_fma_f64 v[98:99], v[92:93], s[8:9], v[98:99]
	v_fma_f64 v[70:71], v[92:93], s[2:3], v[70:71]
	;; [unrolled: 1-line block ×3, first 2 shown]
	v_mul_f64 v[10:11], v[20:21], s[8:9]
	v_fma_f64 v[94:95], v[96:97], s[8:9], v[94:95]
	v_fma_f64 v[56:57], v[96:97], s[2:3], v[56:57]
	;; [unrolled: 1-line block ×5, first 2 shown]
	v_mul_f64 v[10:11], v[32:33], s[14:15]
	v_fma_f64 v[96:97], v[14:15], s[16:17], v[94:95]
	v_fma_f64 v[106:107], v[14:15], s[16:17], v[56:57]
	s_delay_alu instid0(VALU_DEP_3) | instskip(SKIP_1) | instid1(VALU_DEP_4)
	v_fma_f64 v[94:95], v[18:19], s[16:17], v[10:11]
	v_mul_f64 v[10:11], v[18:19], s[18:19]
	v_add_f64 v[70:71], v[96:97], -v[102:103]
	s_delay_alu instid0(VALU_DEP_3) | instskip(NEXT) | instid1(VALU_DEP_3)
	v_add_f64 v[52:53], v[4:5], -v[94:95]
	v_fma_f64 v[110:111], v[32:33], s[16:17], v[10:11]
	v_mul_f64 v[10:11], v[26:27], s[16:17]
	s_delay_alu instid0(VALU_DEP_2) | instskip(NEXT) | instid1(VALU_DEP_2)
	v_add_f64 v[54:55], v[100:101], -v[110:111]
	v_fma_f64 v[98:99], v[28:29], s[14:15], -v[10:11]
	v_mul_f64 v[10:11], v[28:29], s[16:17]
	s_delay_alu instid0(VALU_DEP_2) | instskip(NEXT) | instid1(VALU_DEP_2)
	v_add_f64 v[172:173], v[6:7], -v[98:99]
	v_fma_f64 v[112:113], v[26:27], s[18:19], -v[10:11]
	;; [unrolled: 4-line block ×4, first 2 shown]
	v_mul_u32_u24_e32 v10, 10, v192
	scratch_store_b32 off, v10, off offset:220 ; 4-byte Folded Spill
	v_add_f64 v[58:59], v[106:107], -v[114:115]
	s_and_saveexec_b32 s2, vcc_lo
	s_cbranch_execz .LBB0_7
; %bb.6:
	v_add_f64 v[10:11], v[50:51], v[42:43]
	v_add_f64 v[12:13], v[62:63], v[46:47]
	v_add_f64 v[14:15], v[48:49], v[40:41]
	v_add_f64 v[16:17], v[60:61], v[44:45]
	v_add_f64 v[50:51], v[100:101], v[110:111]
	v_add_f64 v[48:49], v[4:5], v[94:95]
	v_add_f64 v[46:47], v[104:105], v[112:113]
	v_add_f64 v[44:45], v[6:7], v[98:99]
	v_add_f64 v[62:63], v[96:97], v[102:103]
	v_add_f64 v[60:61], v[0:1], v[2:3]
	v_add_f64 v[42:43], v[106:107], v[114:115]
	v_add_f64 v[40:41], v[92:93], v[108:109]
	v_add_f64 v[10:11], v[66:67], v[10:11]
	v_add_f64 v[12:13], v[74:75], v[12:13]
	v_add_f64 v[14:15], v[64:65], v[14:15]
	v_add_f64 v[16:17], v[72:73], v[16:17]
	s_delay_alu instid0(VALU_DEP_4) | instskip(NEXT) | instid1(VALU_DEP_4)
	v_add_f64 v[10:11], v[78:79], v[10:11]
	v_add_f64 v[12:13], v[82:83], v[12:13]
	s_delay_alu instid0(VALU_DEP_4) | instskip(NEXT) | instid1(VALU_DEP_4)
	v_add_f64 v[14:15], v[76:77], v[14:15]
	v_add_f64 v[16:17], v[80:81], v[16:17]
	;; [unrolled: 3-line block ×4, first 2 shown]
	s_delay_alu instid0(VALU_DEP_3) | instskip(SKIP_1) | instid1(VALU_DEP_3)
	v_add_f64 v[6:7], v[12:13], v[10:11]
	v_add_f64 v[2:3], v[10:11], -v[12:13]
	v_add_f64 v[4:5], v[16:17], v[14:15]
	v_add_f64 v[0:1], v[14:15], -v[16:17]
	v_mul_u32_u24_e32 v10, 10, v192
	s_delay_alu instid0(VALU_DEP_1)
	v_lshl_add_u32 v10, v10, 4, v35
	ds_store_b128 v10, v[68:71] offset:96
	ds_store_b128 v10, v[52:55] offset:112
	;; [unrolled: 1-line block ×4, first 2 shown]
	ds_store_b128 v10, v[4:7]
	ds_store_b128 v10, v[60:63] offset:16
	ds_store_b128 v10, v[40:43] offset:64
	;; [unrolled: 1-line block ×5, first 2 shown]
.LBB0_7:
	s_or_b32 exec_lo, exec_lo, s2
	v_and_b32_e32 v0, 0xff, v38
	s_waitcnt lgkmcnt(0)
	s_waitcnt_vscnt null, 0x0
	s_barrier
	buffer_gl0_inv
	s_mov_b32 s2, 0x667f3bcd
	v_mul_lo_u16 v0, 0xcd, v0
	s_mov_b32 s3, 0xbfe6a09e
	s_mov_b32 s9, 0x3fe6a09e
	;; [unrolled: 1-line block ×4, first 2 shown]
	v_lshrrev_b16 v0, 11, v0
	s_mov_b32 s17, 0xbfd87de2
	s_mov_b32 s19, 0x3fd87de2
	;; [unrolled: 1-line block ×4, first 2 shown]
	v_mul_lo_u16 v1, v0, 10
	s_mov_b32 s15, 0xbfed906b
	s_mov_b32 s21, 0x3fed906b
	;; [unrolled: 1-line block ×3, first 2 shown]
	v_and_b32_e32 v0, 0xffff, v0
	v_sub_nc_u16 v1, v38, v1
	s_delay_alu instid0(VALU_DEP_2) | instskip(NEXT) | instid1(VALU_DEP_2)
	v_mul_u32_u24_e32 v0, 0xa0, v0
	v_and_b32_e32 v1, 0xff, v1
	s_delay_alu instid0(VALU_DEP_1) | instskip(NEXT) | instid1(VALU_DEP_3)
	v_mad_u64_u32 v[6:7], null, 0xf0, v1, s[0:1]
	v_or_b32_e32 v0, v0, v1
	s_clause 0x4
	global_load_b128 v[48:51], v[6:7], off
	global_load_b128 v[44:47], v[6:7], off offset:16
	global_load_b128 v[40:43], v[6:7], off offset:32
	;; [unrolled: 1-line block ×4, first 2 shown]
	ds_load_b128 v[2:5], v8 offset:1600
	ds_load_b128 v[60:63], v8 offset:3200
	s_clause 0x7
	global_load_b128 v[96:99], v[6:7], off offset:80
	global_load_b128 v[100:103], v[6:7], off offset:96
	;; [unrolled: 1-line block ×8, first 2 shown]
	scratch_store_b32 off, v35, off offset:216 ; 4-byte Folded Spill
	s_waitcnt vmcnt(12) lgkmcnt(1)
	v_mul_f64 v[10:11], v[4:5], v[50:51]
	v_mul_f64 v[12:13], v[2:3], v[50:51]
	s_waitcnt vmcnt(11) lgkmcnt(0)
	v_mul_f64 v[14:15], v[62:63], v[46:47]
	v_mul_f64 v[16:17], v[60:61], v[46:47]
	s_delay_alu instid0(VALU_DEP_4) | instskip(NEXT) | instid1(VALU_DEP_4)
	v_fma_f64 v[10:11], v[2:3], v[48:49], -v[10:11]
	v_fma_f64 v[12:13], v[4:5], v[48:49], v[12:13]
	ds_load_b128 v[2:5], v8 offset:4800
	v_fma_f64 v[14:15], v[60:61], v[44:45], -v[14:15]
	v_fma_f64 v[16:17], v[62:63], v[44:45], v[16:17]
	s_waitcnt vmcnt(10) lgkmcnt(0)
	v_mul_f64 v[18:19], v[4:5], v[42:43]
	v_mul_f64 v[20:21], v[2:3], v[42:43]
	s_delay_alu instid0(VALU_DEP_2) | instskip(NEXT) | instid1(VALU_DEP_2)
	v_fma_f64 v[18:19], v[2:3], v[40:41], -v[18:19]
	v_fma_f64 v[20:21], v[4:5], v[40:41], v[20:21]
	ds_load_b128 v[2:5], v8 offset:6400
	s_waitcnt vmcnt(9) lgkmcnt(0)
	v_mul_f64 v[22:23], v[4:5], v[90:91]
	s_delay_alu instid0(VALU_DEP_1) | instskip(SKIP_1) | instid1(VALU_DEP_1)
	v_fma_f64 v[22:23], v[2:3], v[88:89], -v[22:23]
	v_mul_f64 v[2:3], v[2:3], v[90:91]
	v_fma_f64 v[24:25], v[4:5], v[88:89], v[2:3]
	ds_load_b128 v[2:5], v8 offset:8000
	s_waitcnt vmcnt(8) lgkmcnt(0)
	v_mul_f64 v[26:27], v[4:5], v[94:95]
	s_delay_alu instid0(VALU_DEP_1) | instskip(SKIP_1) | instid1(VALU_DEP_1)
	v_fma_f64 v[26:27], v[2:3], v[92:93], -v[26:27]
	v_mul_f64 v[2:3], v[2:3], v[94:95]
	;; [unrolled: 7-line block ×8, first 2 shown]
	v_fma_f64 v[82:83], v[4:5], v[116:117], v[2:3]
	ds_load_b128 v[2:5], v8 offset:14400
	s_waitcnt lgkmcnt(0)
	v_mul_f64 v[84:85], v[4:5], v[122:123]
	s_delay_alu instid0(VALU_DEP_1) | instskip(SKIP_1) | instid1(VALU_DEP_1)
	v_fma_f64 v[84:85], v[2:3], v[120:121], -v[84:85]
	v_mul_f64 v[2:3], v[2:3], v[122:123]
	v_fma_f64 v[86:87], v[4:5], v[120:121], v[2:3]
	ds_load_b128 v[2:5], v8 offset:20800
	s_waitcnt vmcnt(0) lgkmcnt(0)
	v_mul_f64 v[128:129], v[4:5], v[126:127]
	s_delay_alu instid0(VALU_DEP_1) | instskip(SKIP_2) | instid1(VALU_DEP_1)
	v_fma_f64 v[136:137], v[2:3], v[124:125], -v[128:129]
	global_load_b128 v[128:131], v[6:7], off offset:160
	v_mul_f64 v[2:3], v[2:3], v[126:127]
	v_fma_f64 v[138:139], v[4:5], v[124:125], v[2:3]
	ds_load_b128 v[2:5], v8 offset:17600
	s_waitcnt vmcnt(0) lgkmcnt(0)
	v_mul_f64 v[132:133], v[4:5], v[130:131]
	s_delay_alu instid0(VALU_DEP_1) | instskip(SKIP_2) | instid1(VALU_DEP_1)
	v_fma_f64 v[140:141], v[2:3], v[128:129], -v[132:133]
	global_load_b128 v[132:135], v[6:7], off offset:224
	v_mul_f64 v[2:3], v[2:3], v[130:131]
	v_fma_f64 v[142:143], v[4:5], v[128:129], v[2:3]
	ds_load_b128 v[2:5], v8 offset:24000
	s_waitcnt vmcnt(0) lgkmcnt(0)
	v_mul_f64 v[6:7], v[2:3], v[134:135]
	s_delay_alu instid0(VALU_DEP_1) | instskip(SKIP_1) | instid1(VALU_DEP_2)
	v_fma_f64 v[6:7], v[4:5], v[132:133], v[6:7]
	v_mul_f64 v[4:5], v[4:5], v[134:135]
	v_add_f64 v[6:7], v[62:63], -v[6:7]
	s_delay_alu instid0(VALU_DEP_2)
	v_fma_f64 v[144:145], v[2:3], v[132:133], -v[4:5]
	ds_load_b128 v[2:5], v8
	s_waitcnt lgkmcnt(0)
	s_waitcnt_vscnt null, 0x0
	s_barrier
	buffer_gl0_inv
	v_add_f64 v[146:147], v[2:3], -v[64:65]
	v_add_f64 v[148:149], v[4:5], -v[66:67]
	v_fma_f64 v[62:63], v[62:63], 2.0, -v[6:7]
	s_delay_alu instid0(VALU_DEP_3) | instskip(NEXT) | instid1(VALU_DEP_3)
	v_fma_f64 v[150:151], v[2:3], 2.0, -v[146:147]
	v_fma_f64 v[152:153], v[4:5], 2.0, -v[148:149]
	v_add_f64 v[2:3], v[22:23], -v[72:73]
	v_add_f64 v[4:5], v[24:25], -v[74:75]
	;; [unrolled: 1-line block ×13, first 2 shown]
	v_fma_f64 v[22:23], v[22:23], 2.0, -v[2:3]
	v_fma_f64 v[24:25], v[24:25], 2.0, -v[4:5]
	;; [unrolled: 1-line block ×13, first 2 shown]
	v_add_f64 v[4:5], v[146:147], -v[4:5]
	v_add_f64 v[78:79], v[72:73], -v[78:79]
	v_add_f64 v[2:3], v[148:149], v[2:3]
	v_add_f64 v[76:77], v[74:75], v[76:77]
	;; [unrolled: 1-line block ×3, first 2 shown]
	v_add_f64 v[6:7], v[136:137], -v[6:7]
	v_lshl_add_u32 v10, v0, 4, v35
	v_add_f64 v[22:23], v[150:151], -v[22:23]
	v_add_f64 v[24:25], v[152:153], -v[24:25]
	v_add_f64 v[30:31], v[14:15], -v[30:31]
	v_add_f64 v[32:33], v[16:17], -v[32:33]
	v_add_f64 v[26:27], v[142:143], -v[26:27]
	v_add_f64 v[28:29], v[11:12], -v[28:29]
	v_add_f64 v[144:145], v[20:21], -v[62:63]
	v_add_f64 v[154:155], v[18:19], -v[60:61]
	v_fma_f64 v[72:73], v[72:73], 2.0, -v[78:79]
	v_fma_f64 v[74:75], v[74:75], 2.0, -v[76:77]
	;; [unrolled: 1-line block ×3, first 2 shown]
	v_add_f64 v[158:159], v[24:25], v[30:31]
	v_add_f64 v[156:157], v[22:23], -v[32:33]
	v_fma_f64 v[13:14], v[14:15], 2.0, -v[30:31]
	v_fma_f64 v[15:16], v[16:17], 2.0, -v[32:33]
	;; [unrolled: 1-line block ×3, first 2 shown]
	v_add_f64 v[60:61], v[26:27], -v[144:145]
	v_fma_f64 v[20:21], v[20:21], 2.0, -v[144:145]
	v_add_f64 v[62:63], v[28:29], v[154:155]
	v_fma_f64 v[17:18], v[18:19], 2.0, -v[154:155]
	v_fma_f64 v[162:163], v[24:25], 2.0, -v[158:159]
	;; [unrolled: 1-line block ×4, first 2 shown]
	v_add_f64 v[13:14], v[0:1], -v[13:14]
	v_fma_f64 v[64:65], v[60:61], s[8:9], v[156:157]
	v_add_f64 v[19:20], v[11:12], -v[20:21]
	v_fma_f64 v[66:67], v[62:63], s[8:9], v[158:159]
	v_add_f64 v[17:18], v[22:23], -v[17:18]
	v_fma_f64 v[0:1], v[0:1], 2.0, -v[13:14]
	v_fma_f64 v[64:65], v[62:63], s[2:3], v[64:65]
	v_fma_f64 v[62:63], v[28:29], 2.0, -v[62:63]
	v_fma_f64 v[66:67], v[60:61], s[8:9], v[66:67]
	v_fma_f64 v[60:61], v[26:27], 2.0, -v[60:61]
	v_fma_f64 v[11:12], v[11:12], 2.0, -v[19:20]
	s_delay_alu instid0(VALU_DEP_4) | instskip(NEXT) | instid1(VALU_DEP_3)
	v_fma_f64 v[166:167], v[62:63], s[2:3], v[162:163]
	v_fma_f64 v[164:165], v[60:61], s[2:3], v[160:161]
	s_delay_alu instid0(VALU_DEP_2) | instskip(SKIP_2) | instid1(VALU_DEP_4)
	v_fma_f64 v[178:179], v[60:61], s[8:9], v[166:167]
	v_add_f64 v[166:167], v[82:83], v[84:85]
	v_fma_f64 v[60:61], v[78:79], s[8:9], v[4:5]
	v_fma_f64 v[176:177], v[62:63], s[2:3], v[164:165]
	v_add_f64 v[164:165], v[80:81], -v[86:87]
	s_delay_alu instid0(VALU_DEP_4) | instskip(NEXT) | instid1(VALU_DEP_4)
	v_fma_f64 v[62:63], v[140:141], s[8:9], v[166:167]
	v_fma_f64 v[168:169], v[76:77], s[2:3], v[60:61]
	;; [unrolled: 1-line block ×3, first 2 shown]
	s_delay_alu instid0(VALU_DEP_4)
	v_fma_f64 v[80:81], v[80:81], 2.0, -v[164:165]
	v_fma_f64 v[82:83], v[82:83], 2.0, -v[166:167]
	;; [unrolled: 1-line block ×3, first 2 shown]
	v_fma_f64 v[62:63], v[6:7], s[8:9], v[62:63]
	v_fma_f64 v[182:183], v[4:5], 2.0, -v[168:169]
	v_fma_f64 v[170:171], v[78:79], s[8:9], v[60:61]
	v_fma_f64 v[60:61], v[6:7], s[8:9], v[164:165]
	v_fma_f64 v[6:7], v[136:137], 2.0, -v[6:7]
	v_fma_f64 v[4:5], v[146:147], 2.0, -v[4:5]
	s_delay_alu instid0(VALU_DEP_4) | instskip(SKIP_1) | instid1(VALU_DEP_4)
	v_fma_f64 v[188:189], v[2:3], 2.0, -v[170:171]
	v_fma_f64 v[2:3], v[148:149], 2.0, -v[2:3]
	v_fma_f64 v[78:79], v[6:7], s[2:3], v[80:81]
	v_fma_f64 v[60:61], v[140:141], s[2:3], v[60:61]
	;; [unrolled: 1-line block ×3, first 2 shown]
	s_delay_alu instid0(VALU_DEP_3) | instskip(SKIP_1) | instid1(VALU_DEP_4)
	v_fma_f64 v[78:79], v[76:77], s[2:3], v[78:79]
	v_fma_f64 v[76:77], v[76:77], s[2:3], v[82:83]
	;; [unrolled: 1-line block ×3, first 2 shown]
	s_delay_alu instid0(VALU_DEP_4)
	v_fma_f64 v[86:87], v[60:61], s[18:19], v[86:87]
	v_fma_f64 v[180:181], v[164:165], 2.0, -v[60:61]
	v_fma_f64 v[60:61], v[166:167], 2.0, -v[62:63]
	v_fma_f64 v[6:7], v[6:7], s[8:9], v[76:77]
	v_fma_f64 v[76:77], v[74:75], s[2:3], v[2:3]
	;; [unrolled: 1-line block ×5, first 2 shown]
	s_delay_alu instid0(VALU_DEP_4) | instskip(SKIP_1) | instid1(VALU_DEP_4)
	v_fma_f64 v[136:137], v[72:73], s[8:9], v[76:77]
	v_fma_f64 v[72:73], v[72:73], s[2:3], v[4:5]
	;; [unrolled: 1-line block ×3, first 2 shown]
	s_delay_alu instid0(VALU_DEP_4)
	v_fma_f64 v[62:63], v[180:181], s[20:21], v[184:185]
	v_add_f64 v[184:185], v[13:14], -v[19:20]
	v_fma_f64 v[146:147], v[2:3], 2.0, -v[136:137]
	v_fma_f64 v[138:139], v[74:75], s[2:3], v[72:73]
	v_fma_f64 v[72:73], v[80:81], 2.0, -v[78:79]
	v_fma_f64 v[74:75], v[6:7], s[18:19], v[136:137]
	s_delay_alu instid0(VALU_DEP_3) | instskip(SKIP_1) | instid1(VALU_DEP_3)
	v_fma_f64 v[76:77], v[78:79], s[18:19], v[138:139]
	v_fma_f64 v[140:141], v[4:5], 2.0, -v[138:139]
	v_fma_f64 v[78:79], v[78:79], s[20:21], v[74:75]
	v_fma_f64 v[74:75], v[158:159], 2.0, -v[66:67]
	s_delay_alu instid0(VALU_DEP_4) | instskip(SKIP_2) | instid1(VALU_DEP_2)
	v_fma_f64 v[76:77], v[6:7], s[14:15], v[76:77]
	v_fma_f64 v[6:7], v[82:83], 2.0, -v[6:7]
	v_fma_f64 v[2:3], v[72:73], s[14:15], v[140:141]
	v_fma_f64 v[4:5], v[6:7], s[14:15], v[146:147]
	s_delay_alu instid0(VALU_DEP_2) | instskip(SKIP_1) | instid1(VALU_DEP_3)
	v_fma_f64 v[2:3], v[6:7], s[16:17], v[2:3]
	v_fma_f64 v[6:7], v[152:153], 2.0, -v[24:25]
	v_fma_f64 v[4:5], v[72:73], s[18:19], v[4:5]
	v_fma_f64 v[72:73], v[156:157], 2.0, -v[64:65]
	s_delay_alu instid0(VALU_DEP_3)
	v_add_f64 v[15:16], v[6:7], -v[15:16]
	ds_store_b128 v10, v[72:75] offset:960
	v_fma_f64 v[72:73], v[168:169], 2.0, -v[84:85]
	v_fma_f64 v[74:75], v[170:171], 2.0, -v[86:87]
	v_add_f64 v[186:187], v[15:16], v[17:18]
	v_fma_f64 v[6:7], v[6:7], 2.0, -v[15:16]
	ds_store_b128 v10, v[72:75] offset:1120
	v_fma_f64 v[72:73], v[13:14], 2.0, -v[184:185]
	v_fma_f64 v[74:75], v[15:16], 2.0, -v[186:187]
	;; [unrolled: 1-line block ×3, first 2 shown]
	ds_store_b128 v10, v[72:75] offset:640
	v_add_f64 v[72:73], v[0:1], -v[13:14]
	v_add_f64 v[74:75], v[6:7], -v[11:12]
	s_delay_alu instid0(VALU_DEP_2) | instskip(NEXT) | instid1(VALU_DEP_2)
	v_fma_f64 v[80:81], v[0:1], 2.0, -v[72:73]
	v_fma_f64 v[82:83], v[6:7], 2.0, -v[74:75]
	ds_store_b128 v10, v[72:75] offset:1280
	v_fma_f64 v[72:73], v[160:161], 2.0, -v[176:177]
	v_fma_f64 v[74:75], v[162:163], 2.0, -v[178:179]
	ds_store_b128 v10, v[72:75] offset:320
	;; [unrolled: 3-line block ×5, first 2 shown]
	ds_store_b128 v10, v[80:83]
	ds_store_b128 v10, v[72:75] offset:160
	ds_store_b128 v10, v[64:67] offset:2240
	;; [unrolled: 1-line block ×7, first 2 shown]
	s_waitcnt lgkmcnt(0)
	s_barrier
	buffer_gl0_inv
	ds_load_b128 v[180:183], v8
	ds_load_b128 v[72:75], v8 offset:2560
	ds_load_b128 v[144:147], v8 offset:5120
	;; [unrolled: 1-line block ×9, first 2 shown]
	s_and_saveexec_b32 s2, vcc_lo
	s_cbranch_execz .LBB0_9
; %bb.8:
	ds_load_b128 v[176:179], v8 offset:1600
	ds_load_b128 v[60:63], v8 offset:4160
	;; [unrolled: 1-line block ×10, first 2 shown]
.LBB0_9:
	s_or_b32 exec_lo, exec_lo, s2
	v_mad_u64_u32 v[0:1], null, 0x90, v38, s[0:1]
	v_subrev_nc_u32_e32 v6, 60, v38
	v_mov_b32_e32 v37, v38
	s_mov_b32 s14, 0x134454ff
	s_mov_b32 s15, 0x3fee6f0e
	;; [unrolled: 1-line block ×3, first 2 shown]
	v_cndmask_b32_e32 v6, v6, v192, vcc_lo
	s_clause 0x1
	global_load_b128 v[136:139], v[0:1], off offset:2432
	global_load_b128 v[168:171], v[0:1], off offset:2528
	s_mov_b32 s16, s14
	s_mov_b32 s3, 0xbfe2cf23
	v_mul_i32_i24_e32 v7, 0x90, v6
	v_mul_hi_i32_i24_e32 v11, 0x90, v6
	s_mov_b32 s8, 0x372fe950
	s_mov_b32 s9, 0x3fd3c6ef
	;; [unrolled: 1-line block ×3, first 2 shown]
	v_add_co_u32 v6, s0, s0, v7
	s_delay_alu instid0(VALU_DEP_1)
	v_add_co_ci_u32_e64 v7, s0, s1, v11, s0
	s_mov_b32 s0, 0x4755a5e
	s_mov_b32 s1, 0x3fe2cf23
	;; [unrolled: 1-line block ×4, first 2 shown]
	global_load_b128 v[13:16], v[6:7], off offset:2432
	s_waitcnt vmcnt(2) lgkmcnt(6)
	v_mul_f64 v[2:3], v[162:163], v[138:139]
	s_waitcnt vmcnt(0)
	v_mul_f64 v[11:12], v[78:79], v[15:16]
	scratch_store_b128 off, v[13:16], off offset:304 ; 16-byte Folded Spill
	v_fma_f64 v[190:191], v[160:161], v[136:137], -v[2:3]
	v_mul_f64 v[2:3], v[160:161], v[138:139]
	v_fma_f64 v[194:195], v[76:77], v[13:14], -v[11:12]
	v_mul_f64 v[11:12], v[76:77], v[15:16]
	s_delay_alu instid0(VALU_DEP_3)
	v_fma_f64 v[188:189], v[162:163], v[136:137], v[2:3]
	global_load_b128 v[160:163], v[0:1], off offset:2464
	v_fma_f64 v[192:193], v[78:79], v[13:14], v[11:12]
	global_load_b128 v[13:16], v[6:7], off offset:2528
	s_waitcnt vmcnt(1) lgkmcnt(4)
	v_mul_f64 v[2:3], v[166:167], v[162:163]
	s_waitcnt vmcnt(0) lgkmcnt(0)
	v_mul_f64 v[11:12], v[58:59], v[15:16]
	scratch_store_b128 off, v[13:16], off offset:320 ; 16-byte Folded Spill
	v_fma_f64 v[198:199], v[164:165], v[160:161], -v[2:3]
	v_mul_f64 v[2:3], v[164:165], v[162:163]
	v_fma_f64 v[200:201], v[56:57], v[13:14], -v[11:12]
	v_mul_f64 v[11:12], v[56:57], v[15:16]
	s_delay_alu instid0(VALU_DEP_3)
	v_fma_f64 v[202:203], v[166:167], v[160:161], v[2:3]
	global_load_b128 v[164:167], v[0:1], off offset:2496
	v_fma_f64 v[196:197], v[58:59], v[13:14], v[11:12]
	global_load_b128 v[13:16], v[6:7], off offset:2400
	s_waitcnt vmcnt(1)
	v_mul_f64 v[2:3], v[158:159], v[166:167]
	s_waitcnt vmcnt(0)
	scratch_store_b128 off, v[13:16], off offset:224 ; 16-byte Folded Spill
	v_fma_f64 v[206:207], v[156:157], v[164:165], -v[2:3]
	v_mul_f64 v[2:3], v[156:157], v[166:167]
	s_delay_alu instid0(VALU_DEP_1) | instskip(SKIP_4) | instid1(VALU_DEP_1)
	v_fma_f64 v[208:209], v[158:159], v[164:165], v[2:3]
	v_mul_f64 v[2:3], v[142:143], v[170:171]
	global_load_b128 v[156:159], v[0:1], off offset:2400
	v_fma_f64 v[218:219], v[140:141], v[168:169], -v[2:3]
	v_mul_f64 v[2:3], v[140:141], v[170:171]
	v_fma_f64 v[214:215], v[142:143], v[168:169], v[2:3]
	global_load_b128 v[140:143], v[0:1], off offset:2416
	s_waitcnt vmcnt(1)
	v_mul_f64 v[4:5], v[72:73], v[158:159]
	s_delay_alu instid0(VALU_DEP_1) | instskip(SKIP_2) | instid1(VALU_DEP_1)
	v_fma_f64 v[4:5], v[74:75], v[156:157], v[4:5]
	s_waitcnt vmcnt(0)
	v_mul_f64 v[2:3], v[146:147], v[142:143]
	v_fma_f64 v[224:225], v[144:145], v[140:141], -v[2:3]
	v_mul_f64 v[2:3], v[144:145], v[142:143]
	s_delay_alu instid0(VALU_DEP_1) | instskip(SKIP_3) | instid1(VALU_DEP_1)
	v_fma_f64 v[230:231], v[146:147], v[140:141], v[2:3]
	global_load_b128 v[144:147], v[0:1], off offset:2448
	s_waitcnt vmcnt(0)
	v_mul_f64 v[2:3], v[150:151], v[146:147]
	v_fma_f64 v[240:241], v[148:149], v[144:145], -v[2:3]
	v_mul_f64 v[2:3], v[148:149], v[146:147]
	s_delay_alu instid0(VALU_DEP_1) | instskip(SKIP_4) | instid1(VALU_DEP_1)
	v_fma_f64 v[242:243], v[150:151], v[144:145], v[2:3]
	global_load_b128 v[148:151], v[0:1], off offset:2480
	v_add_f64 v[78:79], v[242:243], -v[230:231]
	s_waitcnt vmcnt(0)
	v_mul_f64 v[2:3], v[154:155], v[150:151]
	v_fma_f64 v[244:245], v[152:153], v[148:149], -v[2:3]
	v_mul_f64 v[2:3], v[152:153], v[150:151]
	s_delay_alu instid0(VALU_DEP_1) | instskip(SKIP_3) | instid1(VALU_DEP_2)
	v_fma_f64 v[246:247], v[154:155], v[148:149], v[2:3]
	global_load_b128 v[152:155], v[0:1], off offset:2512
	v_mul_f64 v[0:1], v[74:75], v[158:159]
	v_add_f64 v[74:75], v[240:241], -v[244:245]
	v_fma_f64 v[0:1], v[72:73], v[156:157], -v[0:1]
	s_waitcnt vmcnt(0)
	v_mul_f64 v[2:3], v[82:83], v[154:155]
	s_delay_alu instid0(VALU_DEP_1) | instskip(SKIP_1) | instid1(VALU_DEP_2)
	v_fma_f64 v[254:255], v[80:81], v[152:153], -v[2:3]
	v_mul_f64 v[2:3], v[80:81], v[154:155]
	v_add_f64 v[72:73], v[224:225], -v[254:255]
	s_delay_alu instid0(VALU_DEP_2) | instskip(SKIP_3) | instid1(VALU_DEP_1)
	v_fma_f64 v[2:3], v[82:83], v[152:153], v[2:3]
	global_load_b128 v[80:83], v[6:7], off offset:2464
	s_waitcnt vmcnt(0)
	v_mul_f64 v[11:12], v[84:85], v[82:83]
	v_fma_f64 v[204:205], v[86:87], v[80:81], v[11:12]
	v_mul_f64 v[11:12], v[86:87], v[82:83]
	s_delay_alu instid0(VALU_DEP_1) | instskip(SKIP_3) | instid1(VALU_DEP_1)
	v_fma_f64 v[212:213], v[84:85], v[80:81], -v[11:12]
	global_load_b128 v[84:87], v[6:7], off offset:2496
	s_waitcnt vmcnt(0)
	v_mul_f64 v[11:12], v[52:53], v[86:87]
	v_fma_f64 v[210:211], v[54:55], v[84:85], v[11:12]
	v_mul_f64 v[11:12], v[54:55], v[86:87]
	s_delay_alu instid0(VALU_DEP_1) | instskip(SKIP_1) | instid1(VALU_DEP_1)
	v_fma_f64 v[220:221], v[52:53], v[84:85], -v[11:12]
	v_mul_f64 v[11:12], v[62:63], v[15:16]
	v_fma_f64 v[216:217], v[60:61], v[13:14], -v[11:12]
	v_mul_f64 v[11:12], v[60:61], v[15:16]
	v_add_f64 v[60:61], v[190:191], -v[218:219]
	s_delay_alu instid0(VALU_DEP_2) | instskip(SKIP_3) | instid1(VALU_DEP_1)
	v_fma_f64 v[222:223], v[62:63], v[13:14], v[11:12]
	global_load_b128 v[13:16], v[6:7], off offset:2416
	v_add_f64 v[62:63], v[198:199], -v[206:207]
	v_add_f64 v[23:24], v[222:223], v[192:193]
	v_add_f64 v[23:24], v[23:24], v[204:205]
	s_delay_alu instid0(VALU_DEP_1) | instskip(NEXT) | instid1(VALU_DEP_1)
	v_add_f64 v[23:24], v[23:24], v[210:211]
	v_add_f64 v[23:24], v[23:24], v[196:197]
	s_waitcnt vmcnt(0)
	v_mul_f64 v[11:12], v[186:187], v[15:16]
	scratch_store_b128 off, v[13:16], off offset:240 ; 16-byte Folded Spill
	v_fma_f64 v[226:227], v[184:185], v[13:14], -v[11:12]
	v_mul_f64 v[11:12], v[184:185], v[15:16]
	s_delay_alu instid0(VALU_DEP_1)
	v_fma_f64 v[228:229], v[186:187], v[13:14], v[11:12]
	global_load_b128 v[13:16], v[6:7], off offset:2448
	s_waitcnt vmcnt(0)
	v_mul_f64 v[11:12], v[66:67], v[15:16]
	scratch_store_b128 off, v[13:16], off offset:256 ; 16-byte Folded Spill
	v_fma_f64 v[232:233], v[64:65], v[13:14], -v[11:12]
	v_mul_f64 v[11:12], v[64:65], v[15:16]
	v_add_f64 v[64:65], v[188:189], -v[214:215]
	s_delay_alu instid0(VALU_DEP_2)
	v_fma_f64 v[234:235], v[66:67], v[13:14], v[11:12]
	global_load_b128 v[13:16], v[6:7], off offset:2480
	v_add_f64 v[66:67], v[202:203], -v[208:209]
	s_waitcnt vmcnt(0)
	v_mul_f64 v[11:12], v[70:71], v[15:16]
	scratch_store_b128 off, v[13:16], off offset:272 ; 16-byte Folded Spill
	v_fma_f64 v[236:237], v[68:69], v[13:14], -v[11:12]
	v_mul_f64 v[11:12], v[68:69], v[15:16]
	v_add_f64 v[15:16], v[4:5], v[188:189]
	v_add_f64 v[68:69], v[230:231], -v[2:3]
	s_delay_alu instid0(VALU_DEP_3) | instskip(SKIP_3) | instid1(VALU_DEP_2)
	v_fma_f64 v[238:239], v[70:71], v[13:14], v[11:12]
	global_load_b128 v[11:14], v[6:7], off offset:2512
	v_add_f64 v[15:16], v[15:16], v[202:203]
	v_add_f64 v[70:71], v[242:243], -v[246:247]
	v_add_f64 v[15:16], v[15:16], v[208:209]
	s_delay_alu instid0(VALU_DEP_1)
	v_add_f64 v[21:22], v[15:16], v[214:215]
	s_waitcnt vmcnt(0)
	v_mul_f64 v[6:7], v[174:175], v[13:14]
	scratch_store_b128 off, v[11:14], off offset:288 ; 16-byte Folded Spill
	v_fma_f64 v[248:249], v[172:173], v[11:12], -v[6:7]
	v_mul_f64 v[6:7], v[172:173], v[13:14]
	v_add_f64 v[13:14], v[0:1], v[190:191]
	s_delay_alu instid0(VALU_DEP_2) | instskip(SKIP_2) | instid1(VALU_DEP_4)
	v_fma_f64 v[250:251], v[174:175], v[11:12], v[6:7]
	v_add_f64 v[6:7], v[240:241], v[244:245]
	v_add_f64 v[11:12], v[182:183], v[230:231]
	;; [unrolled: 1-line block ×3, first 2 shown]
	s_delay_alu instid0(VALU_DEP_3) | instskip(SKIP_1) | instid1(VALU_DEP_4)
	v_fma_f64 v[27:28], v[6:7], -0.5, v[180:181]
	v_add_f64 v[6:7], v[224:225], v[254:255]
	v_add_f64 v[11:12], v[11:12], v[242:243]
	s_delay_alu instid0(VALU_DEP_4) | instskip(NEXT) | instid1(VALU_DEP_3)
	v_add_f64 v[13:14], v[13:14], v[206:207]
	v_fma_f64 v[29:30], v[6:7], -0.5, v[180:181]
	v_add_f64 v[6:7], v[242:243], v[246:247]
	s_delay_alu instid0(VALU_DEP_4) | instskip(NEXT) | instid1(VALU_DEP_4)
	v_add_f64 v[11:12], v[11:12], v[246:247]
	v_add_f64 v[19:20], v[13:14], v[218:219]
	s_delay_alu instid0(VALU_DEP_3) | instskip(SKIP_1) | instid1(VALU_DEP_4)
	v_fma_f64 v[31:32], v[6:7], -0.5, v[182:183]
	v_add_f64 v[6:7], v[230:231], v[2:3]
	v_add_f64 v[17:18], v[11:12], v[2:3]
	s_delay_alu instid0(VALU_DEP_2) | instskip(SKIP_1) | instid1(VALU_DEP_3)
	v_fma_f64 v[33:34], v[6:7], -0.5, v[182:183]
	v_add_f64 v[6:7], v[180:181], v[224:225]
	v_add_f64 v[13:14], v[17:18], v[21:22]
	v_add_f64 v[17:18], v[17:18], -v[21:22]
	v_add_f64 v[21:22], v[216:217], v[194:195]
	s_delay_alu instid0(VALU_DEP_4) | instskip(NEXT) | instid1(VALU_DEP_2)
	v_add_f64 v[6:7], v[6:7], v[240:241]
	v_add_f64 v[21:22], v[21:22], v[212:213]
	s_delay_alu instid0(VALU_DEP_2) | instskip(NEXT) | instid1(VALU_DEP_2)
	v_add_f64 v[6:7], v[6:7], v[244:245]
	v_add_f64 v[21:22], v[21:22], v[220:221]
	s_delay_alu instid0(VALU_DEP_2) | instskip(NEXT) | instid1(VALU_DEP_2)
	v_add_f64 v[6:7], v[6:7], v[254:255]
	v_add_f64 v[21:22], v[21:22], v[200:201]
	s_delay_alu instid0(VALU_DEP_2) | instskip(SKIP_3) | instid1(VALU_DEP_2)
	v_add_f64 v[11:12], v[6:7], v[19:20]
	v_add_f64 v[15:16], v[6:7], -v[19:20]
	v_add_f64 v[6:7], v[232:233], v[236:237]
	v_add_f64 v[19:20], v[176:177], v[226:227]
	v_fma_f64 v[35:36], v[6:7], -0.5, v[176:177]
	v_add_f64 v[6:7], v[226:227], v[248:249]
	s_delay_alu instid0(VALU_DEP_3) | instskip(NEXT) | instid1(VALU_DEP_2)
	v_add_f64 v[19:20], v[19:20], v[232:233]
	v_fma_f64 v[38:39], v[6:7], -0.5, v[176:177]
	v_add_f64 v[6:7], v[234:235], v[238:239]
	s_delay_alu instid0(VALU_DEP_3) | instskip(NEXT) | instid1(VALU_DEP_2)
	;; [unrolled: 4-line block ×3, first 2 shown]
	v_add_f64 v[19:20], v[19:20], v[248:249]
	v_fma_f64 v[54:55], v[6:7], -0.5, v[178:179]
	v_add_f64 v[6:7], v[178:179], v[228:229]
	s_delay_alu instid0(VALU_DEP_3) | instskip(SKIP_2) | instid1(VALU_DEP_4)
	v_add_f64 v[172:173], v[19:20], v[21:22]
	v_add_f64 v[176:177], v[19:20], -v[21:22]
	v_add_f64 v[19:20], v[254:255], -v[244:245]
	v_add_f64 v[6:7], v[6:7], v[234:235]
	s_delay_alu instid0(VALU_DEP_1) | instskip(NEXT) | instid1(VALU_DEP_1)
	v_add_f64 v[6:7], v[6:7], v[238:239]
	v_add_f64 v[6:7], v[6:7], v[250:251]
	s_delay_alu instid0(VALU_DEP_1) | instskip(SKIP_2) | instid1(VALU_DEP_1)
	v_add_f64 v[174:175], v[6:7], v[23:24]
	v_add_f64 v[178:179], v[6:7], -v[23:24]
	v_add_f64 v[6:7], v[224:225], -v[240:241]
	v_add_f64 v[180:181], v[6:7], v[19:20]
	v_add_f64 v[6:7], v[230:231], -v[242:243]
	v_add_f64 v[19:20], v[2:3], -v[246:247]
	;; [unrolled: 1-line block ×3, first 2 shown]
	s_delay_alu instid0(VALU_DEP_2) | instskip(SKIP_2) | instid1(VALU_DEP_4)
	v_add_f64 v[182:183], v[6:7], v[19:20]
	v_add_f64 v[6:7], v[190:191], -v[198:199]
	v_add_f64 v[19:20], v[218:219], -v[206:207]
	v_add_f64 v[78:79], v[78:79], v[2:3]
	s_delay_alu instid0(VALU_DEP_2) | instskip(SKIP_2) | instid1(VALU_DEP_1)
	v_add_f64 v[184:185], v[6:7], v[19:20]
	v_add_f64 v[6:7], v[188:189], -v[202:203]
	v_add_f64 v[19:20], v[214:215], -v[208:209]
	v_add_f64 v[186:187], v[6:7], v[19:20]
	v_add_f64 v[6:7], v[198:199], v[206:207]
	v_add_f64 v[198:199], v[198:199], -v[190:191]
	v_add_f64 v[190:191], v[190:191], v[218:219]
	v_add_f64 v[206:207], v[206:207], -v[218:219]
	s_delay_alu instid0(VALU_DEP_4)
	v_fma_f64 v[56:57], v[6:7], -0.5, v[0:1]
	v_add_f64 v[6:7], v[202:203], v[208:209]
	v_add_f64 v[202:203], v[202:203], -v[188:189]
	v_add_f64 v[188:189], v[188:189], v[214:215]
	v_add_f64 v[208:209], v[208:209], -v[214:215]
	v_fma_f64 v[190:191], v[190:191], -0.5, v[0:1]
	v_add_f64 v[198:199], v[198:199], v[206:207]
	v_add_f64 v[214:215], v[232:233], -v[236:237]
	v_fma_f64 v[19:20], v[64:65], s[14:15], v[56:57]
	v_fma_f64 v[58:59], v[6:7], -0.5, v[4:5]
	v_fma_f64 v[188:189], v[188:189], -0.5, v[4:5]
	v_add_f64 v[202:203], v[202:203], v[208:209]
	v_fma_f64 v[2:3], v[66:67], s[16:17], v[190:191]
	v_fma_f64 v[190:191], v[66:67], s[14:15], v[190:191]
	;; [unrolled: 1-line block ×14, first 2 shown]
	v_add_f64 v[198:199], v[238:239], -v[250:251]
	v_fma_f64 v[6:7], v[186:187], s[8:9], v[6:7]
	v_fma_f64 v[0:1], v[202:203], s[8:9], v[0:1]
	;; [unrolled: 1-line block ×3, first 2 shown]
	v_add_f64 v[202:203], v[234:235], -v[238:239]
	s_delay_alu instid0(VALU_DEP_4) | instskip(NEXT) | instid1(VALU_DEP_4)
	v_mul_f64 v[21:22], v[6:7], s[0:1]
	v_mul_f64 v[4:5], v[0:1], s[14:15]
	s_delay_alu instid0(VALU_DEP_2) | instskip(SKIP_2) | instid1(VALU_DEP_4)
	v_fma_f64 v[23:24], v[19:20], s[18:19], v[21:22]
	v_mul_f64 v[19:20], v[19:20], s[2:3]
	v_fma_f64 v[21:22], v[72:73], s[16:17], v[31:32]
	v_fma_f64 v[4:5], v[2:3], s[8:9], v[4:5]
	v_mul_f64 v[2:3], v[2:3], s[16:17]
	v_fma_f64 v[31:32], v[72:73], s[14:15], v[31:32]
	v_fma_f64 v[6:7], v[6:7], s[18:19], v[19:20]
	v_fma_f64 v[19:20], v[68:69], s[14:15], v[27:28]
	v_fma_f64 v[21:22], v[74:75], s[2:3], v[21:22]
	v_fma_f64 v[27:28], v[68:69], s[16:17], v[27:28]
	v_fma_f64 v[31:32], v[74:75], s[0:1], v[31:32]
	s_delay_alu instid0(VALU_DEP_4) | instskip(NEXT) | instid1(VALU_DEP_4)
	v_fma_f64 v[19:20], v[70:71], s[0:1], v[19:20]
	v_fma_f64 v[76:77], v[182:183], s[8:9], v[21:22]
	s_delay_alu instid0(VALU_DEP_4) | instskip(NEXT) | instid1(VALU_DEP_3)
	v_fma_f64 v[27:28], v[70:71], s[2:3], v[27:28]
	v_fma_f64 v[25:26], v[180:181], s[8:9], v[19:20]
	s_delay_alu instid0(VALU_DEP_3) | instskip(NEXT) | instid1(VALU_DEP_2)
	v_add_f64 v[21:22], v[76:77], v[6:7]
	v_add_f64 v[19:20], v[25:26], v[23:24]
	v_add_f64 v[23:24], v[25:26], -v[23:24]
	v_add_f64 v[25:26], v[76:77], -v[6:7]
	;; [unrolled: 1-line block ×4, first 2 shown]
	s_delay_alu instid0(VALU_DEP_1)
	v_add_f64 v[76:77], v[6:7], v[76:77]
	v_fma_f64 v[6:7], v[0:1], s[8:9], v[2:3]
	v_fma_f64 v[0:1], v[70:71], s[16:17], v[29:30]
	;; [unrolled: 1-line block ×5, first 2 shown]
	v_add_f64 v[70:71], v[212:213], -v[220:221]
	v_add_f64 v[74:75], v[192:193], -v[196:197]
	v_fma_f64 v[0:1], v[68:69], s[0:1], v[0:1]
	v_fma_f64 v[29:30], v[68:69], s[2:3], v[29:30]
	;; [unrolled: 1-line block ×4, first 2 shown]
	v_add_f64 v[68:69], v[194:195], -v[200:201]
	v_fma_f64 v[206:207], v[76:77], s[8:9], v[0:1]
	v_fma_f64 v[29:30], v[76:77], s[8:9], v[29:30]
	v_mul_f64 v[76:77], v[190:191], s[8:9]
	v_fma_f64 v[208:209], v[78:79], s[8:9], v[2:3]
	v_fma_f64 v[33:34], v[78:79], s[8:9], v[33:34]
	v_mul_f64 v[78:79], v[188:189], s[8:9]
	v_add_f64 v[0:1], v[206:207], v[4:5]
	v_add_f64 v[4:5], v[206:207], -v[4:5]
	v_fma_f64 v[76:77], v[188:189], s[14:15], -v[76:77]
	v_add_f64 v[2:3], v[208:209], v[6:7]
	v_add_f64 v[6:7], v[208:209], -v[6:7]
	v_fma_f64 v[78:79], v[190:191], s[16:17], -v[78:79]
	v_add_f64 v[208:209], v[226:227], -v[248:249]
	v_add_f64 v[206:207], v[212:213], -v[194:195]
	;; [unrolled: 1-line block ×3, first 2 shown]
	v_add_f64 v[240:241], v[29:30], v[76:77]
	v_add_f64 v[244:245], v[29:30], -v[76:77]
	v_fma_f64 v[29:30], v[64:65], s[16:17], v[56:57]
	v_add_f64 v[242:243], v[33:34], v[78:79]
	v_add_f64 v[246:247], v[33:34], -v[78:79]
	v_fma_f64 v[33:34], v[60:61], s[14:15], v[58:59]
	v_fma_f64 v[56:57], v[180:181], s[8:9], v[27:28]
	;; [unrolled: 1-line block ×3, first 2 shown]
	v_add_f64 v[60:61], v[250:251], -v[238:239]
	v_add_f64 v[64:65], v[196:197], -v[210:211]
	v_add_f64 v[76:77], v[204:205], -v[210:211]
	v_fma_f64 v[182:183], v[208:209], s[16:17], v[52:53]
	v_fma_f64 v[52:53], v[208:209], s[14:15], v[52:53]
	;; [unrolled: 1-line block ×3, first 2 shown]
	v_add_f64 v[66:67], v[212:213], v[220:221]
	v_fma_f64 v[33:34], v[62:63], s[0:1], v[33:34]
	v_add_f64 v[62:63], v[200:201], -v[220:221]
	v_fma_f64 v[182:183], v[214:215], s[2:3], v[182:183]
	v_fma_f64 v[52:53], v[214:215], s[0:1], v[52:53]
	;; [unrolled: 1-line block ×3, first 2 shown]
	v_fma_f64 v[66:67], v[66:67], -0.5, v[216:217]
	v_fma_f64 v[33:34], v[186:187], s[8:9], v[33:34]
	s_delay_alu instid0(VALU_DEP_3) | instskip(NEXT) | instid1(VALU_DEP_3)
	v_mul_f64 v[27:28], v[29:30], s[18:19]
	v_fma_f64 v[78:79], v[74:75], s[14:15], v[66:67]
	s_delay_alu instid0(VALU_DEP_2) | instskip(SKIP_1) | instid1(VALU_DEP_3)
	v_fma_f64 v[31:32], v[33:34], s[0:1], -v[27:28]
	v_mul_f64 v[27:28], v[33:34], s[18:19]
	v_fma_f64 v[78:79], v[76:77], s[0:1], v[78:79]
	s_delay_alu instid0(VALU_DEP_2) | instskip(NEXT) | instid1(VALU_DEP_4)
	v_fma_f64 v[33:34], v[29:30], s[2:3], -v[27:28]
	v_add_f64 v[27:28], v[56:57], v[31:32]
	v_add_f64 v[31:32], v[56:57], -v[31:32]
	v_add_f64 v[56:57], v[226:227], -v[232:233]
	s_delay_alu instid0(VALU_DEP_4)
	v_add_f64 v[29:30], v[58:59], v[33:34]
	v_add_f64 v[33:34], v[58:59], -v[33:34]
	v_add_f64 v[58:59], v[248:249], -v[236:237]
	ds_store_b128 v8, v[11:14]
	ds_store_b128 v8, v[19:22] offset:2560
	ds_store_b128 v8, v[0:3] offset:5120
	;; [unrolled: 1-line block ×9, first 2 shown]
	v_add_f64 v[56:57], v[56:57], v[58:59]
	v_add_f64 v[58:59], v[228:229], -v[234:235]
	s_delay_alu instid0(VALU_DEP_1) | instskip(SKIP_3) | instid1(VALU_DEP_4)
	v_add_f64 v[58:59], v[58:59], v[60:61]
	v_add_f64 v[60:61], v[194:195], -v[212:213]
	v_add_f64 v[194:195], v[194:195], v[200:201]
	v_add_f64 v[200:201], v[220:221], -v[200:201]
	v_fma_f64 v[188:189], v[58:59], s[8:9], v[182:183]
	s_delay_alu instid0(VALU_DEP_4)
	v_add_f64 v[60:61], v[60:61], v[62:63]
	v_add_f64 v[62:63], v[192:193], -v[204:205]
	v_fma_f64 v[194:195], v[194:195], -0.5, v[216:217]
	v_add_f64 v[200:201], v[206:207], v[200:201]
	v_fma_f64 v[52:53], v[58:59], s[8:9], v[52:53]
	v_fma_f64 v[78:79], v[60:61], s[8:9], v[78:79]
	v_add_f64 v[62:63], v[62:63], v[64:65]
	v_add_f64 v[64:65], v[204:205], v[210:211]
	v_add_f64 v[204:205], v[204:205], -v[192:193]
	v_add_f64 v[192:193], v[192:193], v[196:197]
	v_add_f64 v[196:197], v[210:211], -v[196:197]
	v_add_f64 v[210:211], v[190:191], v[198:199]
	v_fma_f64 v[190:191], v[76:77], s[16:17], v[194:195]
	v_fma_f64 v[194:195], v[76:77], s[14:15], v[194:195]
	v_fma_f64 v[64:65], v[64:65], -0.5, v[222:223]
	v_fma_f64 v[192:193], v[192:193], -0.5, v[222:223]
	v_add_f64 v[204:205], v[204:205], v[196:197]
	v_fma_f64 v[190:191], v[74:75], s[0:1], v[190:191]
	v_fma_f64 v[194:195], v[74:75], s[2:3], v[194:195]
	;; [unrolled: 1-line block ×3, first 2 shown]
	s_delay_alu instid0(VALU_DEP_3) | instskip(NEXT) | instid1(VALU_DEP_3)
	v_fma_f64 v[190:191], v[200:201], s[8:9], v[190:191]
	v_fma_f64 v[194:195], v[200:201], s[8:9], v[194:195]
	s_delay_alu instid0(VALU_DEP_3) | instskip(NEXT) | instid1(VALU_DEP_1)
	v_fma_f64 v[72:73], v[70:71], s[2:3], v[72:73]
	v_fma_f64 v[72:73], v[62:63], s[8:9], v[72:73]
	s_delay_alu instid0(VALU_DEP_1) | instskip(NEXT) | instid1(VALU_DEP_1)
	v_mul_f64 v[180:181], v[72:73], s[0:1]
	v_fma_f64 v[184:185], v[78:79], s[18:19], v[180:181]
	v_mul_f64 v[78:79], v[78:79], s[2:3]
	s_delay_alu instid0(VALU_DEP_1) | instskip(SKIP_1) | instid1(VALU_DEP_2)
	v_fma_f64 v[72:73], v[72:73], s[18:19], v[78:79]
	v_add_f64 v[78:79], v[228:229], -v[250:251]
	v_add_f64 v[182:183], v[188:189], v[72:73]
	s_delay_alu instid0(VALU_DEP_2) | instskip(SKIP_1) | instid1(VALU_DEP_2)
	v_fma_f64 v[180:181], v[78:79], s[14:15], v[35:36]
	v_fma_f64 v[35:36], v[78:79], s[16:17], v[35:36]
	;; [unrolled: 1-line block ×3, first 2 shown]
	s_delay_alu instid0(VALU_DEP_2) | instskip(NEXT) | instid1(VALU_DEP_2)
	v_fma_f64 v[35:36], v[202:203], s[2:3], v[35:36]
	v_fma_f64 v[186:187], v[56:57], s[8:9], v[180:181]
	s_delay_alu instid0(VALU_DEP_2) | instskip(NEXT) | instid1(VALU_DEP_2)
	v_fma_f64 v[35:36], v[56:57], s[8:9], v[35:36]
	v_add_f64 v[180:181], v[186:187], v[184:185]
	v_add_f64 v[184:185], v[186:187], -v[184:185]
	v_add_f64 v[186:187], v[188:189], -v[72:73]
	;; [unrolled: 1-line block ×4, first 2 shown]
	s_delay_alu instid0(VALU_DEP_1) | instskip(SKIP_2) | instid1(VALU_DEP_2)
	v_add_f64 v[72:73], v[72:73], v[188:189]
	v_fma_f64 v[188:189], v[70:71], s[14:15], v[192:193]
	v_fma_f64 v[192:193], v[70:71], s[16:17], v[192:193]
	;; [unrolled: 1-line block ×3, first 2 shown]
	s_delay_alu instid0(VALU_DEP_2) | instskip(NEXT) | instid1(VALU_DEP_2)
	v_fma_f64 v[192:193], v[68:69], s[0:1], v[192:193]
	v_fma_f64 v[188:189], v[204:205], s[8:9], v[188:189]
	s_delay_alu instid0(VALU_DEP_2) | instskip(NEXT) | instid1(VALU_DEP_2)
	v_fma_f64 v[192:193], v[204:205], s[8:9], v[192:193]
	v_mul_f64 v[196:197], v[188:189], s[14:15]
	s_delay_alu instid0(VALU_DEP_1) | instskip(SKIP_1) | instid1(VALU_DEP_1)
	v_fma_f64 v[196:197], v[190:191], s[8:9], v[196:197]
	v_mul_f64 v[190:191], v[190:191], s[16:17]
	v_fma_f64 v[198:199], v[188:189], s[8:9], v[190:191]
	v_fma_f64 v[188:189], v[202:203], s[16:17], v[38:39]
	;; [unrolled: 1-line block ×5, first 2 shown]
	s_delay_alu instid0(VALU_DEP_4) | instskip(NEXT) | instid1(VALU_DEP_4)
	v_fma_f64 v[188:189], v[78:79], s[0:1], v[188:189]
	v_fma_f64 v[38:39], v[78:79], s[2:3], v[38:39]
	s_delay_alu instid0(VALU_DEP_4) | instskip(NEXT) | instid1(VALU_DEP_4)
	v_fma_f64 v[190:191], v[208:209], s[2:3], v[190:191]
	v_fma_f64 v[54:55], v[208:209], s[0:1], v[54:55]
	s_delay_alu instid0(VALU_DEP_4) | instskip(NEXT) | instid1(VALU_DEP_4)
	v_fma_f64 v[206:207], v[72:73], s[8:9], v[188:189]
	v_fma_f64 v[38:39], v[72:73], s[8:9], v[38:39]
	v_mul_f64 v[72:73], v[194:195], s[8:9]
	s_delay_alu instid0(VALU_DEP_4)
	v_fma_f64 v[54:55], v[210:211], s[8:9], v[54:55]
	v_fma_f64 v[212:213], v[210:211], s[8:9], v[190:191]
	v_add_f64 v[188:189], v[206:207], v[196:197]
	v_add_f64 v[196:197], v[206:207], -v[196:197]
	v_fma_f64 v[72:73], v[192:193], s[14:15], -v[72:73]
	v_mul_f64 v[192:193], v[192:193], s[8:9]
	v_add_f64 v[190:191], v[212:213], v[198:199]
	v_add_f64 v[198:199], v[212:213], -v[198:199]
	s_delay_alu instid0(VALU_DEP_4) | instskip(NEXT) | instid1(VALU_DEP_4)
	v_add_f64 v[204:205], v[38:39], -v[72:73]
	v_fma_f64 v[200:201], v[194:195], s[16:17], -v[192:193]
	v_add_f64 v[192:193], v[38:39], v[72:73]
	v_fma_f64 v[38:39], v[74:75], s[16:17], v[66:67]
	s_delay_alu instid0(VALU_DEP_3) | instskip(SKIP_2) | instid1(VALU_DEP_4)
	v_add_f64 v[194:195], v[54:55], v[200:201]
	v_add_f64 v[206:207], v[54:55], -v[200:201]
	v_fma_f64 v[54:55], v[68:69], s[14:15], v[64:65]
	v_fma_f64 v[38:39], v[76:77], s[2:3], v[38:39]
	s_delay_alu instid0(VALU_DEP_2) | instskip(NEXT) | instid1(VALU_DEP_2)
	v_fma_f64 v[54:55], v[70:71], s[0:1], v[54:55]
	v_fma_f64 v[38:39], v[60:61], s[8:9], v[38:39]
	s_delay_alu instid0(VALU_DEP_2) | instskip(NEXT) | instid1(VALU_DEP_2)
	v_fma_f64 v[54:55], v[62:63], s[8:9], v[54:55]
	v_mul_f64 v[56:57], v[38:39], s[18:19]
	s_delay_alu instid0(VALU_DEP_1) | instskip(SKIP_1) | instid1(VALU_DEP_2)
	v_fma_f64 v[56:57], v[54:55], s[0:1], -v[56:57]
	v_mul_f64 v[54:55], v[54:55], s[18:19]
	v_add_f64 v[200:201], v[35:36], v[56:57]
	s_delay_alu instid0(VALU_DEP_2) | instskip(SKIP_1) | instid1(VALU_DEP_2)
	v_fma_f64 v[38:39], v[38:39], s[2:3], -v[54:55]
	v_add_f64 v[208:209], v[35:36], -v[56:57]
	v_add_f64 v[202:203], v[52:53], v[38:39]
	v_add_f64 v[210:211], v[52:53], -v[38:39]
	s_and_saveexec_b32 s0, vcc_lo
	s_cbranch_execz .LBB0_11
; %bb.10:
	ds_store_b128 v8, v[172:175] offset:1600
	ds_store_b128 v8, v[180:183] offset:4160
	;; [unrolled: 1-line block ×10, first 2 shown]
.LBB0_11:
	s_or_b32 exec_lo, exec_lo, s0
	s_waitcnt lgkmcnt(0)
	s_waitcnt_vscnt null, 0x0
	s_barrier
	buffer_gl0_inv
	scratch_load_b32 v0, off, off offset:212 ; 4-byte Folded Reload
	s_add_u32 s0, s12, 0x6400
	s_addc_u32 s1, s13, 0
	v_mov_b32_e32 v254, v37
	s_waitcnt vmcnt(0)
	global_load_b128 v[2:5], v0, s[0:1]
	scratch_load_b32 v0, off, off offset:208 ; 4-byte Folded Reload
	s_waitcnt vmcnt(0)
	global_load_b128 v[11:14], v0, s[0:1]
	v_lshlrev_b32_e32 v0, 4, v254
	s_clause 0x1
	global_load_b128 v[15:18], v0, s[0:1]
	global_load_b128 v[19:22], v0, s[0:1] offset:2560
	v_add_co_u32 v0, s0, s0, v0
	s_delay_alu instid0(VALU_DEP_1) | instskip(SKIP_2) | instid1(VALU_DEP_1)
	v_add_co_ci_u32_e64 v1, null, s1, 0, s0
	ds_load_b128 v[27:30], v8 offset:10240
	v_add_co_u32 v6, s0, 0x1000, v0
	v_add_co_ci_u32_e64 v7, s0, 0, v1, s0
	v_add_co_u32 v212, s0, 0x3000, v0
	s_delay_alu instid0(VALU_DEP_1)
	v_add_co_ci_u32_e64 v213, s0, 0, v1, s0
	global_load_b128 v[23:26], v[6:7], off offset:1024
	ds_load_b128 v[214:217], v8 offset:12800
	ds_load_b128 v[218:221], v8 offset:15360
	;; [unrolled: 1-line block ×4, first 2 shown]
	s_waitcnt lgkmcnt(4)
	v_mul_f64 v[31:32], v[29:30], v[4:5]
	v_mul_f64 v[4:5], v[27:28], v[4:5]
	s_delay_alu instid0(VALU_DEP_2) | instskip(NEXT) | instid1(VALU_DEP_2)
	v_fma_f64 v[27:28], v[27:28], v[2:3], -v[31:32]
	v_fma_f64 v[29:30], v[29:30], v[2:3], v[4:5]
	ds_load_b128 v[2:5], v8 offset:20480
	s_waitcnt vmcnt(3) lgkmcnt(0)
	v_mul_f64 v[31:32], v[4:5], v[13:14]
	v_mul_f64 v[13:14], v[2:3], v[13:14]
	s_delay_alu instid0(VALU_DEP_2) | instskip(NEXT) | instid1(VALU_DEP_2)
	v_fma_f64 v[31:32], v[2:3], v[11:12], -v[31:32]
	v_fma_f64 v[33:34], v[4:5], v[11:12], v[13:14]
	ds_load_b128 v[2:5], v8
	s_waitcnt vmcnt(2) lgkmcnt(0)
	v_mul_f64 v[11:12], v[4:5], v[17:18]
	v_mul_f64 v[13:14], v[2:3], v[17:18]
	s_delay_alu instid0(VALU_DEP_2) | instskip(NEXT) | instid1(VALU_DEP_2)
	v_fma_f64 v[11:12], v[2:3], v[15:16], -v[11:12]
	v_fma_f64 v[13:14], v[4:5], v[15:16], v[13:14]
	ds_load_b128 v[2:5], v8 offset:2560
	s_waitcnt vmcnt(1) lgkmcnt(0)
	v_mul_f64 v[15:16], v[4:5], v[21:22]
	v_mul_f64 v[17:18], v[2:3], v[21:22]
	s_delay_alu instid0(VALU_DEP_2) | instskip(NEXT) | instid1(VALU_DEP_2)
	v_fma_f64 v[15:16], v[2:3], v[19:20], -v[15:16]
	v_fma_f64 v[17:18], v[4:5], v[19:20], v[17:18]
	ds_load_b128 v[2:5], v8 offset:5120
	s_waitcnt vmcnt(0) lgkmcnt(0)
	v_mul_f64 v[19:20], v[4:5], v[25:26]
	v_mul_f64 v[21:22], v[2:3], v[25:26]
	s_delay_alu instid0(VALU_DEP_2) | instskip(NEXT) | instid1(VALU_DEP_2)
	v_fma_f64 v[19:20], v[2:3], v[23:24], -v[19:20]
	v_fma_f64 v[21:22], v[4:5], v[23:24], v[21:22]
	global_load_b128 v[2:5], v[6:7], off offset:3584
	ds_load_b128 v[23:26], v8 offset:7680
	s_waitcnt vmcnt(0) lgkmcnt(0)
	v_mul_f64 v[35:36], v[25:26], v[4:5]
	v_mul_f64 v[4:5], v[23:24], v[4:5]
	s_delay_alu instid0(VALU_DEP_2) | instskip(NEXT) | instid1(VALU_DEP_2)
	v_fma_f64 v[23:24], v[23:24], v[2:3], -v[35:36]
	v_fma_f64 v[25:26], v[25:26], v[2:3], v[4:5]
	global_load_b128 v[2:5], v[212:213], off offset:512
	s_waitcnt vmcnt(0)
	v_mul_f64 v[35:36], v[216:217], v[4:5]
	v_mul_f64 v[4:5], v[214:215], v[4:5]
	s_delay_alu instid0(VALU_DEP_2) | instskip(NEXT) | instid1(VALU_DEP_2)
	v_fma_f64 v[214:215], v[214:215], v[2:3], -v[35:36]
	v_fma_f64 v[216:217], v[216:217], v[2:3], v[4:5]
	global_load_b128 v[2:5], v[212:213], off offset:3072
	s_waitcnt vmcnt(0)
	v_mul_f64 v[35:36], v[220:221], v[4:5]
	v_mul_f64 v[4:5], v[218:219], v[4:5]
	s_delay_alu instid0(VALU_DEP_2) | instskip(NEXT) | instid1(VALU_DEP_2)
	v_fma_f64 v[218:219], v[218:219], v[2:3], -v[35:36]
	v_fma_f64 v[220:221], v[220:221], v[2:3], v[4:5]
	v_add_co_u32 v2, s0, 0x4000, v0
	s_delay_alu instid0(VALU_DEP_1) | instskip(SKIP_4) | instid1(VALU_DEP_2)
	v_add_co_ci_u32_e64 v3, s0, 0, v1, s0
	global_load_b128 v[222:225], v[2:3], off offset:1536
	s_waitcnt vmcnt(0)
	v_mul_f64 v[4:5], v[228:229], v[224:225]
	v_mul_f64 v[35:36], v[226:227], v[224:225]
	v_fma_f64 v[224:225], v[226:227], v[222:223], -v[4:5]
	v_add_co_u32 v4, s0, 0x5000, v0
	s_delay_alu instid0(VALU_DEP_1) | instskip(NEXT) | instid1(VALU_DEP_4)
	v_add_co_ci_u32_e64 v5, s0, 0, v1, s0
	v_fma_f64 v[226:227], v[228:229], v[222:223], v[35:36]
	global_load_b128 v[228:231], v[4:5], off offset:2560
	s_waitcnt vmcnt(0)
	v_mul_f64 v[35:36], v[234:235], v[230:231]
	v_mul_f64 v[38:39], v[232:233], v[230:231]
	s_delay_alu instid0(VALU_DEP_2) | instskip(NEXT) | instid1(VALU_DEP_2)
	v_fma_f64 v[230:231], v[232:233], v[228:229], -v[35:36]
	v_fma_f64 v[232:233], v[234:235], v[228:229], v[38:39]
	ds_store_b128 v8, v[27:30] offset:10240
	ds_store_b128 v8, v[31:34] offset:20480
	ds_store_b128 v8, v[11:14]
	ds_store_b128 v8, v[15:18] offset:2560
	ds_store_b128 v8, v[19:22] offset:5120
	;; [unrolled: 1-line block ×7, first 2 shown]
	s_and_saveexec_b32 s1, vcc_lo
	s_cbranch_execz .LBB0_13
; %bb.12:
	s_clause 0x4
	global_load_b128 v[11:14], v[0:1], off offset:1600
	global_load_b128 v[15:18], v[6:7], off offset:64
	;; [unrolled: 1-line block ×5, first 2 shown]
	ds_load_b128 v[31:34], v8 offset:1600
	ds_load_b128 v[216:219], v8 offset:9280
	;; [unrolled: 1-line block ×4, first 2 shown]
	s_waitcnt vmcnt(4) lgkmcnt(3)
	v_mul_f64 v[6:7], v[33:34], v[13:14]
	v_mul_f64 v[13:14], v[31:32], v[13:14]
	s_delay_alu instid0(VALU_DEP_2) | instskip(NEXT) | instid1(VALU_DEP_2)
	v_fma_f64 v[31:32], v[31:32], v[11:12], -v[6:7]
	v_fma_f64 v[33:34], v[33:34], v[11:12], v[13:14]
	ds_load_b128 v[11:14], v8 offset:4160
	s_waitcnt vmcnt(3) lgkmcnt(0)
	v_mul_f64 v[6:7], v[13:14], v[17:18]
	v_mul_f64 v[17:18], v[11:12], v[17:18]
	s_delay_alu instid0(VALU_DEP_2) | instskip(NEXT) | instid1(VALU_DEP_2)
	v_fma_f64 v[11:12], v[11:12], v[15:16], -v[6:7]
	v_fma_f64 v[13:14], v[13:14], v[15:16], v[17:18]
	ds_load_b128 v[15:18], v8 offset:6720
	;; [unrolled: 7-line block ×4, first 2 shown]
	s_waitcnt vmcnt(0) lgkmcnt(0)
	v_mul_f64 v[6:7], v[25:26], v[29:30]
	v_mul_f64 v[29:30], v[23:24], v[29:30]
	s_delay_alu instid0(VALU_DEP_2) | instskip(NEXT) | instid1(VALU_DEP_2)
	v_fma_f64 v[23:24], v[23:24], v[27:28], -v[6:7]
	v_fma_f64 v[25:26], v[25:26], v[27:28], v[29:30]
	global_load_b128 v[27:30], v[2:3], off offset:3136
	s_waitcnt vmcnt(0)
	v_mul_f64 v[2:3], v[214:215], v[29:30]
	v_mul_f64 v[6:7], v[212:213], v[29:30]
	s_delay_alu instid0(VALU_DEP_2)
	v_fma_f64 v[212:213], v[212:213], v[27:28], -v[2:3]
	global_load_b128 v[2:5], v[4:5], off offset:1600
	v_fma_f64 v[214:215], v[214:215], v[27:28], v[6:7]
	ds_load_b128 v[27:30], v8 offset:22080
	s_waitcnt vmcnt(0) lgkmcnt(0)
	v_mul_f64 v[6:7], v[29:30], v[4:5]
	v_mul_f64 v[35:36], v[27:28], v[4:5]
	s_delay_alu instid0(VALU_DEP_2) | instskip(NEXT) | instid1(VALU_DEP_2)
	v_fma_f64 v[4:5], v[27:28], v[2:3], -v[6:7]
	v_fma_f64 v[6:7], v[29:30], v[2:3], v[35:36]
	v_add_co_u32 v2, s0, 0x2000, v0
	s_delay_alu instid0(VALU_DEP_1) | instskip(SKIP_1) | instid1(VALU_DEP_1)
	v_add_co_ci_u32_e64 v3, s0, 0, v1, s0
	v_add_co_u32 v0, s0, 0x6000, v0
	v_add_co_ci_u32_e64 v1, s0, 0, v1, s0
	global_load_b128 v[27:30], v[2:3], off offset:1088
	s_waitcnt vmcnt(0)
	v_mul_f64 v[35:36], v[218:219], v[29:30]
	v_mul_f64 v[29:30], v[216:217], v[29:30]
	s_delay_alu instid0(VALU_DEP_2) | instskip(NEXT) | instid1(VALU_DEP_2)
	v_fma_f64 v[216:217], v[216:217], v[27:28], -v[35:36]
	v_fma_f64 v[218:219], v[218:219], v[27:28], v[29:30]
	global_load_b128 v[27:30], v[2:3], off offset:3648
	s_waitcnt vmcnt(0)
	v_mul_f64 v[2:3], v[222:223], v[29:30]
	v_mul_f64 v[29:30], v[220:221], v[29:30]
	s_delay_alu instid0(VALU_DEP_2)
	v_fma_f64 v[220:221], v[220:221], v[27:28], -v[2:3]
	global_load_b128 v[0:3], v[0:1], off offset:64
	v_fma_f64 v[222:223], v[222:223], v[27:28], v[29:30]
	ds_load_b128 v[27:30], v8 offset:24640
	s_waitcnt vmcnt(0) lgkmcnt(0)
	v_mul_f64 v[35:36], v[29:30], v[2:3]
	v_mul_f64 v[2:3], v[27:28], v[2:3]
	s_delay_alu instid0(VALU_DEP_2) | instskip(NEXT) | instid1(VALU_DEP_2)
	v_fma_f64 v[27:28], v[27:28], v[0:1], -v[35:36]
	v_fma_f64 v[29:30], v[29:30], v[0:1], v[2:3]
	ds_store_b128 v8, v[31:34] offset:1600
	ds_store_b128 v8, v[11:14] offset:4160
	;; [unrolled: 1-line block ×10, first 2 shown]
.LBB0_13:
	s_or_b32 exec_lo, exec_lo, s1
	s_waitcnt lgkmcnt(0)
	s_barrier
	buffer_gl0_inv
	ds_load_b128 v[216:219], v8
	ds_load_b128 v[212:215], v8 offset:2560
	ds_load_b128 v[244:247], v8 offset:5120
	;; [unrolled: 1-line block ×9, first 2 shown]
	s_and_saveexec_b32 s0, vcc_lo
	s_cbranch_execz .LBB0_15
; %bb.14:
	ds_load_b128 v[172:175], v8 offset:1600
	ds_load_b128 v[180:183], v8 offset:4160
	;; [unrolled: 1-line block ×10, first 2 shown]
.LBB0_15:
	s_or_b32 exec_lo, exec_lo, s0
	s_waitcnt lgkmcnt(7)
	v_add_f64 v[0:1], v[216:217], v[244:245]
	s_waitcnt lgkmcnt(6)
	v_add_f64 v[52:53], v[212:213], v[228:229]
	v_add_f64 v[2:3], v[218:219], v[246:247]
	;; [unrolled: 1-line block ×3, first 2 shown]
	s_waitcnt lgkmcnt(2)
	v_add_f64 v[64:65], v[234:235], v[222:223]
	v_add_f64 v[4:5], v[248:249], v[236:237]
	v_add_f64 v[11:12], v[244:245], -v[248:249]
	s_waitcnt lgkmcnt(1)
	v_add_f64 v[25:26], v[244:245], v[240:241]
	v_add_f64 v[31:32], v[240:241], -v[236:237]
	v_add_f64 v[56:57], v[232:233], v[220:221]
	s_waitcnt lgkmcnt(0)
	v_add_f64 v[74:75], v[228:229], v[224:225]
	v_add_f64 v[76:77], v[228:229], -v[224:225]
	s_mov_b32 s8, 0x134454ff
	s_mov_b32 s9, 0xbfee6f0e
	;; [unrolled: 1-line block ×4, first 2 shown]
	v_add_f64 v[15:16], v[250:251], v[238:239]
	v_add_f64 v[19:20], v[246:247], -v[250:251]
	v_add_f64 v[29:30], v[246:247], v[242:243]
	v_add_f64 v[35:36], v[242:243], -v[238:239]
	v_add_f64 v[60:61], v[228:229], -v[232:233]
	;; [unrolled: 1-line block ×7, first 2 shown]
	v_add_f64 v[78:79], v[230:231], v[226:227]
	v_add_f64 v[228:229], v[224:225], -v[220:221]
	v_add_f64 v[230:231], v[220:221], -v[224:225]
	s_mov_b32 s0, 0x4755a5e
	s_mov_b32 s1, 0xbfe2cf23
	;; [unrolled: 1-line block ×4, first 2 shown]
	v_add_f64 v[58:59], v[234:235], -v[222:223]
	s_mov_b32 s14, 0x372fe950
	s_mov_b32 s15, 0x3fd3c6ef
	;; [unrolled: 1-line block ×4, first 2 shown]
	v_add_f64 v[0:1], v[0:1], v[248:249]
	v_add_f64 v[52:53], v[52:53], v[232:233]
	;; [unrolled: 1-line block ×4, first 2 shown]
	v_fma_f64 v[64:65], v[64:65], -0.5, v[214:215]
	v_fma_f64 v[4:5], v[4:5], -0.5, v[216:217]
	v_add_f64 v[23:24], v[246:247], -v[242:243]
	v_fma_f64 v[25:26], v[25:26], -0.5, v[216:217]
	v_add_f64 v[6:7], v[250:251], -v[238:239]
	v_fma_f64 v[56:57], v[56:57], -0.5, v[212:213]
	v_fma_f64 v[74:75], v[74:75], -0.5, v[212:213]
	v_add_f64 v[27:28], v[244:245], -v[240:241]
	v_add_f64 v[17:18], v[248:249], -v[236:237]
	;; [unrolled: 1-line block ×5, first 2 shown]
	v_fma_f64 v[15:16], v[15:16], -0.5, v[218:219]
	v_add_f64 v[38:39], v[238:239], -v[242:243]
	v_fma_f64 v[29:30], v[29:30], -0.5, v[218:219]
	v_add_f64 v[232:233], v[222:223], -v[226:227]
	s_mov_b32 s19, 0xbfd3c6ef
	s_mov_b32 s18, s14
	;; [unrolled: 1-line block ×4, first 2 shown]
	s_barrier
	v_fma_f64 v[78:79], v[78:79], -0.5, v[214:215]
	buffer_gl0_inv
	v_add_f64 v[0:1], v[0:1], v[236:237]
	v_add_f64 v[52:53], v[52:53], v[220:221]
	;; [unrolled: 1-line block ×4, first 2 shown]
	v_add_f64 v[220:221], v[226:227], -v[222:223]
	v_add_f64 v[13:14], v[13:14], v[33:34]
	v_add_f64 v[21:22], v[21:22], v[38:39]
	v_fma_f64 v[38:39], v[58:59], s[12:13], v[74:75]
	v_add_f64 v[33:34], v[70:71], v[232:233]
	v_add_f64 v[0:1], v[0:1], v[240:241]
	;; [unrolled: 1-line block ×5, first 2 shown]
	v_fma_f64 v[38:39], v[72:73], s[0:1], v[38:39]
	s_delay_alu instid0(VALU_DEP_4)
	v_add_f64 v[212:213], v[0:1], v[52:53]
	v_add_f64 v[216:217], v[0:1], -v[52:53]
	v_add_f64 v[0:1], v[11:12], v[31:32]
	v_fma_f64 v[31:32], v[76:77], s[12:13], v[64:65]
	v_add_f64 v[214:215], v[2:3], v[54:55]
	v_add_f64 v[218:219], v[2:3], -v[54:55]
	v_add_f64 v[2:3], v[19:20], v[35:36]
	v_add_f64 v[19:20], v[68:69], v[220:221]
	v_fma_f64 v[35:36], v[72:73], s[8:9], v[56:57]
	v_add_f64 v[11:12], v[60:61], v[228:229]
	v_fma_f64 v[54:55], v[27:28], s[12:13], v[15:16]
	v_fma_f64 v[15:16], v[27:28], s[8:9], v[15:16]
	v_add_f64 v[60:61], v[192:193], -v[208:209]
	v_fma_f64 v[31:32], v[66:67], s[2:3], v[31:32]
	v_fma_f64 v[35:36], v[58:59], s[0:1], v[35:36]
	;; [unrolled: 1-line block ×3, first 2 shown]
	s_delay_alu instid0(VALU_DEP_3) | instskip(NEXT) | instid1(VALU_DEP_3)
	v_fma_f64 v[31:32], v[19:20], s[14:15], v[31:32]
	v_fma_f64 v[35:36], v[11:12], s[14:15], v[35:36]
	s_delay_alu instid0(VALU_DEP_3) | instskip(NEXT) | instid1(VALU_DEP_3)
	v_fma_f64 v[54:55], v[2:3], s[14:15], v[54:55]
	v_mul_f64 v[52:53], v[31:32], s[0:1]
	s_delay_alu instid0(VALU_DEP_1) | instskip(SKIP_1) | instid1(VALU_DEP_1)
	v_fma_f64 v[52:53], v[35:36], s[16:17], v[52:53]
	v_mul_f64 v[35:36], v[35:36], s[2:3]
	v_fma_f64 v[31:32], v[31:32], s[16:17], v[35:36]
	v_fma_f64 v[35:36], v[23:24], s[8:9], v[4:5]
	;; [unrolled: 1-line block ×3, first 2 shown]
	s_delay_alu instid0(VALU_DEP_3) | instskip(NEXT) | instid1(VALU_DEP_3)
	v_add_f64 v[226:227], v[54:55], v[31:32]
	v_fma_f64 v[35:36], v[6:7], s[0:1], v[35:36]
	v_add_f64 v[222:223], v[54:55], -v[31:32]
	v_add_f64 v[31:32], v[62:63], v[230:231]
	v_fma_f64 v[54:55], v[17:18], s[8:9], v[29:30]
	v_fma_f64 v[4:5], v[6:7], s[2:3], v[4:5]
	;; [unrolled: 1-line block ×3, first 2 shown]
	s_delay_alu instid0(VALU_DEP_4) | instskip(NEXT) | instid1(VALU_DEP_4)
	v_fma_f64 v[38:39], v[31:32], s[14:15], v[38:39]
	v_fma_f64 v[54:55], v[27:28], s[2:3], v[54:55]
	s_delay_alu instid0(VALU_DEP_4) | instskip(NEXT) | instid1(VALU_DEP_4)
	v_fma_f64 v[0:1], v[0:1], s[14:15], v[4:5]
	v_add_f64 v[224:225], v[35:36], v[52:53]
	v_add_f64 v[220:221], v[35:36], -v[52:53]
	v_fma_f64 v[35:36], v[66:67], s[8:9], v[78:79]
	v_fma_f64 v[54:55], v[21:22], s[14:15], v[54:55]
	s_delay_alu instid0(VALU_DEP_2) | instskip(NEXT) | instid1(VALU_DEP_1)
	v_fma_f64 v[35:36], v[76:77], s[2:3], v[35:36]
	v_fma_f64 v[35:36], v[33:34], s[14:15], v[35:36]
	s_delay_alu instid0(VALU_DEP_1) | instskip(SKIP_1) | instid1(VALU_DEP_2)
	v_mul_f64 v[52:53], v[35:36], s[8:9]
	v_mul_f64 v[35:36], v[35:36], s[14:15]
	v_fma_f64 v[52:53], v[38:39], s[14:15], v[52:53]
	s_delay_alu instid0(VALU_DEP_2) | instskip(SKIP_3) | instid1(VALU_DEP_4)
	v_fma_f64 v[35:36], v[38:39], s[12:13], v[35:36]
	v_fma_f64 v[38:39], v[6:7], s[12:13], v[25:26]
	;; [unrolled: 1-line block ×4, first 2 shown]
	v_add_f64 v[234:235], v[54:55], v[35:36]
	s_delay_alu instid0(VALU_DEP_4) | instskip(NEXT) | instid1(VALU_DEP_4)
	v_fma_f64 v[38:39], v[23:24], s[0:1], v[38:39]
	v_fma_f64 v[25:26], v[23:24], s[2:3], v[25:26]
	s_delay_alu instid0(VALU_DEP_4)
	v_fma_f64 v[2:3], v[2:3], s[14:15], v[6:7]
	v_add_f64 v[23:24], v[190:191], -v[206:207]
	v_add_f64 v[230:231], v[54:55], -v[35:36]
	;; [unrolled: 1-line block ×3, first 2 shown]
	v_fma_f64 v[38:39], v[13:14], s[14:15], v[38:39]
	v_fma_f64 v[13:14], v[13:14], s[14:15], v[25:26]
	;; [unrolled: 1-line block ×4, first 2 shown]
	s_delay_alu instid0(VALU_DEP_4) | instskip(SKIP_1) | instid1(VALU_DEP_4)
	v_add_f64 v[232:233], v[38:39], v[52:53]
	v_add_f64 v[228:229], v[38:39], -v[52:53]
	v_fma_f64 v[25:26], v[27:28], s[0:1], v[25:26]
	s_delay_alu instid0(VALU_DEP_4) | instskip(SKIP_2) | instid1(VALU_DEP_4)
	v_fma_f64 v[29:30], v[72:73], s[2:3], v[29:30]
	v_add_f64 v[27:28], v[202:203], -v[186:187]
	v_add_f64 v[52:53], v[194:195], -v[210:211]
	v_fma_f64 v[21:22], v[21:22], s[14:15], v[25:26]
	v_fma_f64 v[25:26], v[66:67], s[12:13], v[78:79]
	;; [unrolled: 1-line block ×3, first 2 shown]
	s_delay_alu instid0(VALU_DEP_2) | instskip(NEXT) | instid1(VALU_DEP_1)
	v_fma_f64 v[25:26], v[76:77], s[0:1], v[25:26]
	v_fma_f64 v[25:26], v[33:34], s[14:15], v[25:26]
	s_delay_alu instid0(VALU_DEP_1) | instskip(SKIP_1) | instid1(VALU_DEP_2)
	v_mul_f64 v[31:32], v[25:26], s[8:9]
	v_mul_f64 v[25:26], v[25:26], s[18:19]
	v_fma_f64 v[31:32], v[29:30], s[18:19], v[31:32]
	s_delay_alu instid0(VALU_DEP_2) | instskip(NEXT) | instid1(VALU_DEP_2)
	v_fma_f64 v[25:26], v[29:30], s[12:13], v[25:26]
	v_add_f64 v[240:241], v[13:14], v[31:32]
	v_add_f64 v[236:237], v[13:14], -v[31:32]
	v_fma_f64 v[13:14], v[76:77], s[8:9], v[64:65]
	s_delay_alu instid0(VALU_DEP_4)
	v_add_f64 v[242:243], v[21:22], v[25:26]
	v_add_f64 v[238:239], v[21:22], -v[25:26]
	v_fma_f64 v[21:22], v[72:73], s[12:13], v[56:57]
	v_add_f64 v[31:32], v[188:189], -v[204:205]
	v_add_f64 v[56:57], v[178:179], -v[198:199]
	v_add_f64 v[64:65], v[176:177], -v[196:197]
	v_fma_f64 v[13:14], v[66:67], s[0:1], v[13:14]
	v_fma_f64 v[15:16], v[58:59], s[2:3], v[21:22]
	s_delay_alu instid0(VALU_DEP_2) | instskip(NEXT) | instid1(VALU_DEP_2)
	v_fma_f64 v[13:14], v[19:20], s[14:15], v[13:14]
	v_fma_f64 v[4:5], v[11:12], s[14:15], v[15:16]
	s_delay_alu instid0(VALU_DEP_2) | instskip(SKIP_1) | instid1(VALU_DEP_2)
	v_mul_f64 v[6:7], v[13:14], s[0:1]
	v_mul_f64 v[11:12], v[13:14], s[20:21]
	v_fma_f64 v[6:7], v[4:5], s[20:21], v[6:7]
	s_delay_alu instid0(VALU_DEP_2) | instskip(NEXT) | instid1(VALU_DEP_2)
	v_fma_f64 v[4:5], v[4:5], s[2:3], v[11:12]
	v_add_f64 v[248:249], v[0:1], v[6:7]
	s_delay_alu instid0(VALU_DEP_2)
	v_add_f64 v[250:251], v[2:3], v[4:5]
	v_add_f64 v[244:245], v[0:1], -v[6:7]
	v_add_f64 v[246:247], v[2:3], -v[4:5]
	;; [unrolled: 1-line block ×6, first 2 shown]
	ds_store_b128 v9, v[212:215]
	ds_store_b128 v9, v[216:219] offset:80
	ds_store_b128 v9, v[224:227] offset:16
	;; [unrolled: 1-line block ×9, first 2 shown]
	v_add_f64 v[2:3], v[2:3], v[0:1]
	v_add_f64 v[0:1], v[200:201], -v[188:189]
	s_delay_alu instid0(VALU_DEP_1) | instskip(SKIP_1) | instid1(VALU_DEP_1)
	v_add_f64 v[4:5], v[4:5], v[0:1]
	v_add_f64 v[0:1], v[190:191], -v[202:203]
	v_add_f64 v[11:12], v[6:7], v[0:1]
	v_add_f64 v[0:1], v[202:203], -v[190:191]
	v_add_f64 v[6:7], v[186:187], -v[206:207]
	s_delay_alu instid0(VALU_DEP_1) | instskip(SKIP_2) | instid1(VALU_DEP_1)
	v_add_f64 v[13:14], v[6:7], v[0:1]
	v_add_f64 v[0:1], v[192:193], -v[176:177]
	v_add_f64 v[6:7], v[208:209], -v[196:197]
	v_add_f64 v[15:16], v[6:7], v[0:1]
	v_add_f64 v[0:1], v[176:177], -v[192:193]
	v_add_f64 v[6:7], v[196:197], -v[208:209]
	s_delay_alu instid0(VALU_DEP_1) | instskip(SKIP_2) | instid1(VALU_DEP_1)
	v_add_f64 v[17:18], v[6:7], v[0:1]
	v_add_f64 v[0:1], v[194:195], -v[178:179]
	v_add_f64 v[6:7], v[210:211], -v[198:199]
	v_add_f64 v[19:20], v[6:7], v[0:1]
	v_add_f64 v[0:1], v[178:179], -v[194:195]
	v_add_f64 v[6:7], v[198:199], -v[210:211]
	s_delay_alu instid0(VALU_DEP_1) | instskip(SKIP_2) | instid1(VALU_DEP_2)
	v_add_f64 v[21:22], v[6:7], v[0:1]
	v_add_f64 v[0:1], v[184:185], v[200:201]
	;; [unrolled: 1-line block ×3, first 2 shown]
	v_fma_f64 v[0:1], v[0:1], -0.5, v[172:173]
	s_delay_alu instid0(VALU_DEP_2) | instskip(NEXT) | instid1(VALU_DEP_2)
	v_fma_f64 v[6:7], v[6:7], -0.5, v[172:173]
	v_fma_f64 v[25:26], v[23:24], s[8:9], v[0:1]
	v_fma_f64 v[0:1], v[23:24], s[12:13], v[0:1]
	s_delay_alu instid0(VALU_DEP_3) | instskip(SKIP_1) | instid1(VALU_DEP_4)
	v_fma_f64 v[29:30], v[27:28], s[12:13], v[6:7]
	v_fma_f64 v[6:7], v[27:28], s[8:9], v[6:7]
	;; [unrolled: 1-line block ×3, first 2 shown]
	s_delay_alu instid0(VALU_DEP_4)
	v_fma_f64 v[27:28], v[27:28], s[2:3], v[0:1]
	v_add_f64 v[0:1], v[186:187], v[202:203]
	v_fma_f64 v[29:30], v[23:24], s[0:1], v[29:30]
	v_fma_f64 v[23:24], v[23:24], s[2:3], v[6:7]
	v_add_f64 v[6:7], v[206:207], v[190:191]
	v_fma_f64 v[232:233], v[2:3], s[14:15], v[27:28]
	v_fma_f64 v[0:1], v[0:1], -0.5, v[174:175]
	s_delay_alu instid0(VALU_DEP_3) | instskip(NEXT) | instid1(VALU_DEP_2)
	v_fma_f64 v[6:7], v[6:7], -0.5, v[174:175]
	v_fma_f64 v[33:34], v[31:32], s[12:13], v[0:1]
	v_fma_f64 v[0:1], v[31:32], s[8:9], v[0:1]
	s_delay_alu instid0(VALU_DEP_3) | instskip(SKIP_1) | instid1(VALU_DEP_4)
	v_fma_f64 v[38:39], v[35:36], s[8:9], v[6:7]
	v_fma_f64 v[6:7], v[35:36], s[12:13], v[6:7]
	;; [unrolled: 1-line block ×3, first 2 shown]
	s_delay_alu instid0(VALU_DEP_4)
	v_fma_f64 v[35:36], v[35:36], s[0:1], v[0:1]
	v_add_f64 v[0:1], v[176:177], v[196:197]
	v_fma_f64 v[38:39], v[31:32], s[2:3], v[38:39]
	v_fma_f64 v[31:32], v[31:32], s[0:1], v[6:7]
	v_add_f64 v[6:7], v[208:209], v[192:193]
	v_fma_f64 v[244:245], v[11:12], s[14:15], v[35:36]
	v_fma_f64 v[0:1], v[0:1], -0.5, v[180:181]
	v_fma_f64 v[234:235], v[13:14], s[14:15], v[38:39]
	v_fma_f64 v[228:229], v[13:14], s[14:15], v[31:32]
	v_fma_f64 v[6:7], v[6:7], -0.5, v[180:181]
	s_delay_alu instid0(VALU_DEP_4) | instskip(SKIP_1) | instid1(VALU_DEP_3)
	v_fma_f64 v[54:55], v[52:53], s[8:9], v[0:1]
	v_fma_f64 v[0:1], v[52:53], s[12:13], v[0:1]
	;; [unrolled: 1-line block ×4, first 2 shown]
	s_delay_alu instid0(VALU_DEP_4) | instskip(NEXT) | instid1(VALU_DEP_4)
	v_fma_f64 v[54:55], v[56:57], s[0:1], v[54:55]
	v_fma_f64 v[56:57], v[56:57], s[2:3], v[0:1]
	v_add_f64 v[0:1], v[178:179], v[198:199]
	v_fma_f64 v[58:59], v[52:53], s[0:1], v[58:59]
	v_fma_f64 v[52:53], v[52:53], s[2:3], v[6:7]
	v_add_f64 v[6:7], v[210:211], v[194:195]
	v_fma_f64 v[13:14], v[15:16], s[14:15], v[56:57]
	v_fma_f64 v[0:1], v[0:1], -0.5, v[182:183]
	s_delay_alu instid0(VALU_DEP_3) | instskip(NEXT) | instid1(VALU_DEP_2)
	v_fma_f64 v[6:7], v[6:7], -0.5, v[182:183]
	v_fma_f64 v[62:63], v[60:61], s[12:13], v[0:1]
	v_fma_f64 v[0:1], v[60:61], s[8:9], v[0:1]
	s_delay_alu instid0(VALU_DEP_3) | instskip(SKIP_1) | instid1(VALU_DEP_4)
	v_fma_f64 v[66:67], v[64:65], s[8:9], v[6:7]
	v_fma_f64 v[6:7], v[64:65], s[12:13], v[6:7]
	;; [unrolled: 1-line block ×3, first 2 shown]
	s_delay_alu instid0(VALU_DEP_4)
	v_fma_f64 v[64:65], v[64:65], s[0:1], v[0:1]
	v_fma_f64 v[0:1], v[2:3], s[14:15], v[25:26]
	v_fma_f64 v[66:67], v[60:61], s[2:3], v[66:67]
	v_fma_f64 v[2:3], v[4:5], s[14:15], v[23:24]
	v_fma_f64 v[60:61], v[60:61], s[0:1], v[6:7]
	v_fma_f64 v[6:7], v[4:5], s[14:15], v[29:30]
	v_fma_f64 v[4:5], v[11:12], s[14:15], v[33:34]
	v_fma_f64 v[11:12], v[15:16], s[14:15], v[54:55]
	v_fma_f64 v[15:16], v[17:18], s[14:15], v[58:59]
	v_fma_f64 v[17:18], v[17:18], s[14:15], v[52:53]
	v_fma_f64 v[23:24], v[19:20], s[14:15], v[62:63]
	v_fma_f64 v[19:20], v[19:20], s[14:15], v[64:65]
	v_fma_f64 v[25:26], v[21:22], s[14:15], v[66:67]
	v_fma_f64 v[21:22], v[21:22], s[14:15], v[60:61]
	s_delay_alu instid0(VALU_DEP_4) | instskip(SKIP_1) | instid1(VALU_DEP_2)
	v_mul_f64 v[27:28], v[23:24], s[0:1]
	v_mul_f64 v[23:24], v[23:24], s[16:17]
	v_fma_f64 v[230:231], v[11:12], s[16:17], v[27:28]
	s_delay_alu instid0(VALU_DEP_2) | instskip(SKIP_2) | instid1(VALU_DEP_4)
	v_fma_f64 v[236:237], v[11:12], s[2:3], v[23:24]
	v_mul_f64 v[11:12], v[25:26], s[8:9]
	v_mul_f64 v[23:24], v[25:26], s[14:15]
	v_add_f64 v[212:213], v[0:1], -v[230:231]
	s_delay_alu instid0(VALU_DEP_4) | instskip(NEXT) | instid1(VALU_DEP_4)
	v_add_f64 v[214:215], v[4:5], -v[236:237]
	v_fma_f64 v[238:239], v[15:16], s[14:15], v[11:12]
	s_delay_alu instid0(VALU_DEP_4) | instskip(SKIP_2) | instid1(VALU_DEP_4)
	v_fma_f64 v[246:247], v[15:16], s[12:13], v[23:24]
	v_mul_f64 v[11:12], v[21:22], s[8:9]
	v_mul_f64 v[15:16], v[21:22], s[18:19]
	v_add_f64 v[220:221], v[6:7], -v[238:239]
	s_delay_alu instid0(VALU_DEP_4) | instskip(NEXT) | instid1(VALU_DEP_4)
	v_add_f64 v[222:223], v[234:235], -v[246:247]
	v_fma_f64 v[240:241], v[17:18], s[18:19], v[11:12]
	s_delay_alu instid0(VALU_DEP_4) | instskip(SKIP_2) | instid1(VALU_DEP_4)
	v_fma_f64 v[242:243], v[17:18], s[12:13], v[15:16]
	v_mul_f64 v[11:12], v[19:20], s[0:1]
	v_mul_f64 v[15:16], v[19:20], s[20:21]
	v_add_f64 v[216:217], v[2:3], -v[240:241]
	s_delay_alu instid0(VALU_DEP_4) | instskip(NEXT) | instid1(VALU_DEP_4)
	v_add_f64 v[218:219], v[228:229], -v[242:243]
	v_fma_f64 v[248:249], v[13:14], s[20:21], v[11:12]
	s_delay_alu instid0(VALU_DEP_4) | instskip(NEXT) | instid1(VALU_DEP_2)
	v_fma_f64 v[250:251], v[13:14], s[2:3], v[15:16]
	v_add_f64 v[224:225], v[232:233], -v[248:249]
	s_delay_alu instid0(VALU_DEP_2)
	v_add_f64 v[226:227], v[244:245], -v[250:251]
	s_and_saveexec_b32 s0, vcc_lo
	s_cbranch_execz .LBB0_17
; %bb.16:
	v_add_f64 v[11:12], v[190:191], v[174:175]
	v_add_f64 v[13:14], v[188:189], v[172:173]
	;; [unrolled: 1-line block ×12, first 2 shown]
	s_delay_alu instid0(VALU_DEP_4) | instskip(NEXT) | instid1(VALU_DEP_4)
	v_add_f64 v[11:12], v[186:187], v[11:12]
	v_add_f64 v[13:14], v[184:185], v[13:14]
	s_delay_alu instid0(VALU_DEP_4) | instskip(NEXT) | instid1(VALU_DEP_4)
	v_add_f64 v[15:16], v[198:199], v[15:16]
	v_add_f64 v[17:18], v[196:197], v[17:18]
	;; [unrolled: 3-line block ×4, first 2 shown]
	v_add_f64 v[15:16], v[6:7], v[238:239]
	v_add_f64 v[17:18], v[234:235], v[246:247]
	;; [unrolled: 1-line block ×6, first 2 shown]
	v_add_f64 v[25:26], v[23:24], -v[25:26]
	v_add_f64 v[23:24], v[27:28], -v[29:30]
	s_clause 0x1
	scratch_load_b32 v9, off, off offset:216
	scratch_load_b32 v27, off, off offset:220
	s_waitcnt vmcnt(0)
	v_lshl_add_u32 v9, v27, 4, v9
	ds_store_b128 v9, v[15:18] offset:32
	ds_store_b128 v9, v[212:215] offset:96
	;; [unrolled: 1-line block ×7, first 2 shown]
	ds_store_b128 v9, v[4:7]
	ds_store_b128 v9, v[23:26] offset:80
	ds_store_b128 v9, v[224:227] offset:144
.LBB0_17:
	s_or_b32 exec_lo, exec_lo, s0
	s_waitcnt lgkmcnt(0)
	s_barrier
	buffer_gl0_inv
	ds_load_b128 v[0:3], v8 offset:1600
	s_mov_b32 s0, 0x667f3bcd
	s_mov_b32 s1, 0xbfe6a09e
	;; [unrolled: 1-line block ×12, first 2 shown]
	s_waitcnt lgkmcnt(0)
	v_mul_f64 v[4:5], v[50:51], v[2:3]
	s_delay_alu instid0(VALU_DEP_1) | instskip(SKIP_1) | instid1(VALU_DEP_1)
	v_fma_f64 v[4:5], v[48:49], v[0:1], v[4:5]
	v_mul_f64 v[0:1], v[50:51], v[0:1]
	v_fma_f64 v[6:7], v[48:49], v[2:3], -v[0:1]
	ds_load_b128 v[0:3], v8 offset:3200
	s_waitcnt lgkmcnt(0)
	v_mul_f64 v[11:12], v[46:47], v[2:3]
	s_delay_alu instid0(VALU_DEP_1) | instskip(SKIP_1) | instid1(VALU_DEP_1)
	v_fma_f64 v[11:12], v[44:45], v[0:1], v[11:12]
	v_mul_f64 v[0:1], v[46:47], v[0:1]
	v_fma_f64 v[13:14], v[44:45], v[2:3], -v[0:1]
	ds_load_b128 v[0:3], v8 offset:4800
	s_waitcnt lgkmcnt(0)
	v_mul_f64 v[15:16], v[42:43], v[2:3]
	s_delay_alu instid0(VALU_DEP_1) | instskip(SKIP_1) | instid1(VALU_DEP_1)
	v_fma_f64 v[15:16], v[40:41], v[0:1], v[15:16]
	v_mul_f64 v[0:1], v[42:43], v[0:1]
	v_fma_f64 v[17:18], v[40:41], v[2:3], -v[0:1]
	ds_load_b128 v[0:3], v8 offset:6400
	s_waitcnt lgkmcnt(0)
	v_mul_f64 v[19:20], v[90:91], v[2:3]
	s_delay_alu instid0(VALU_DEP_1) | instskip(SKIP_1) | instid1(VALU_DEP_1)
	v_fma_f64 v[19:20], v[88:89], v[0:1], v[19:20]
	v_mul_f64 v[0:1], v[90:91], v[0:1]
	v_fma_f64 v[21:22], v[88:89], v[2:3], -v[0:1]
	ds_load_b128 v[0:3], v8 offset:8000
	s_waitcnt lgkmcnt(0)
	v_mul_f64 v[23:24], v[94:95], v[2:3]
	s_delay_alu instid0(VALU_DEP_1) | instskip(SKIP_1) | instid1(VALU_DEP_1)
	v_fma_f64 v[23:24], v[92:93], v[0:1], v[23:24]
	v_mul_f64 v[0:1], v[94:95], v[0:1]
	v_fma_f64 v[25:26], v[92:93], v[2:3], -v[0:1]
	ds_load_b128 v[0:3], v8 offset:9600
	s_waitcnt lgkmcnt(0)
	v_mul_f64 v[27:28], v[98:99], v[2:3]
	s_delay_alu instid0(VALU_DEP_1) | instskip(SKIP_1) | instid1(VALU_DEP_1)
	v_fma_f64 v[27:28], v[96:97], v[0:1], v[27:28]
	v_mul_f64 v[0:1], v[98:99], v[0:1]
	v_fma_f64 v[29:30], v[96:97], v[2:3], -v[0:1]
	ds_load_b128 v[0:3], v8 offset:11200
	s_waitcnt lgkmcnt(0)
	v_mul_f64 v[31:32], v[102:103], v[2:3]
	s_delay_alu instid0(VALU_DEP_1) | instskip(SKIP_1) | instid1(VALU_DEP_1)
	v_fma_f64 v[31:32], v[100:101], v[0:1], v[31:32]
	v_mul_f64 v[0:1], v[102:103], v[0:1]
	v_fma_f64 v[33:34], v[100:101], v[2:3], -v[0:1]
	ds_load_b128 v[0:3], v8 offset:12800
	s_waitcnt lgkmcnt(0)
	v_mul_f64 v[35:36], v[106:107], v[2:3]
	s_delay_alu instid0(VALU_DEP_1) | instskip(SKIP_1) | instid1(VALU_DEP_1)
	v_fma_f64 v[35:36], v[104:105], v[0:1], v[35:36]
	v_mul_f64 v[0:1], v[106:107], v[0:1]
	v_fma_f64 v[37:38], v[104:105], v[2:3], -v[0:1]
	ds_load_b128 v[0:3], v8 offset:19200
	s_waitcnt lgkmcnt(0)
	v_mul_f64 v[39:40], v[110:111], v[2:3]
	s_delay_alu instid0(VALU_DEP_1) | instskip(SKIP_1) | instid1(VALU_DEP_1)
	v_fma_f64 v[39:40], v[108:109], v[0:1], v[39:40]
	v_mul_f64 v[0:1], v[110:111], v[0:1]
	v_fma_f64 v[41:42], v[108:109], v[2:3], -v[0:1]
	ds_load_b128 v[0:3], v8 offset:16000
	s_waitcnt lgkmcnt(0)
	v_mul_f64 v[43:44], v[114:115], v[2:3]
	s_delay_alu instid0(VALU_DEP_1) | instskip(SKIP_1) | instid1(VALU_DEP_2)
	v_fma_f64 v[43:44], v[112:113], v[0:1], v[43:44]
	v_mul_f64 v[0:1], v[114:115], v[0:1]
	v_add_f64 v[71:72], v[11:12], -v[43:44]
	s_delay_alu instid0(VALU_DEP_2)
	v_fma_f64 v[45:46], v[112:113], v[2:3], -v[0:1]
	ds_load_b128 v[0:3], v8 offset:22400
	s_waitcnt lgkmcnt(0)
	v_mul_f64 v[47:48], v[118:119], v[2:3]
	v_fma_f64 v[11:12], v[11:12], 2.0, -v[71:72]
	v_add_f64 v[73:74], v[13:14], -v[45:46]
	s_delay_alu instid0(VALU_DEP_3) | instskip(SKIP_1) | instid1(VALU_DEP_3)
	v_fma_f64 v[47:48], v[116:117], v[0:1], v[47:48]
	v_mul_f64 v[0:1], v[118:119], v[0:1]
	v_fma_f64 v[13:14], v[13:14], 2.0, -v[73:74]
	s_delay_alu instid0(VALU_DEP_3) | instskip(NEXT) | instid1(VALU_DEP_3)
	v_add_f64 v[75:76], v[27:28], -v[47:48]
	v_fma_f64 v[49:50], v[116:117], v[2:3], -v[0:1]
	ds_load_b128 v[0:3], v8 offset:14400
	s_waitcnt lgkmcnt(0)
	v_mul_f64 v[51:52], v[122:123], v[2:3]
	v_fma_f64 v[27:28], v[27:28], 2.0, -v[75:76]
	v_add_f64 v[48:49], v[29:30], -v[49:50]
	v_add_f64 v[75:76], v[73:74], -v[75:76]
	s_delay_alu instid0(VALU_DEP_4)
	v_fma_f64 v[51:52], v[120:121], v[0:1], v[51:52]
	v_mul_f64 v[0:1], v[122:123], v[0:1]
	v_add_f64 v[27:28], v[11:12], -v[27:28]
	v_fma_f64 v[29:30], v[29:30], 2.0, -v[48:49]
	v_add_f64 v[92:93], v[71:72], v[48:49]
	v_add_f64 v[77:78], v[4:5], -v[51:52]
	v_fma_f64 v[53:54], v[120:121], v[2:3], -v[0:1]
	ds_load_b128 v[0:3], v8 offset:20800
	v_add_f64 v[29:30], v[13:14], -v[29:30]
	s_waitcnt lgkmcnt(0)
	v_mul_f64 v[55:56], v[126:127], v[2:3]
	v_add_f64 v[52:53], v[6:7], -v[53:54]
	s_delay_alu instid0(VALU_DEP_2) | instskip(SKIP_1) | instid1(VALU_DEP_3)
	v_fma_f64 v[55:56], v[124:125], v[0:1], v[55:56]
	v_mul_f64 v[0:1], v[126:127], v[0:1]
	v_fma_f64 v[96:97], v[6:7], 2.0, -v[52:53]
	s_delay_alu instid0(VALU_DEP_3) | instskip(NEXT) | instid1(VALU_DEP_3)
	v_add_f64 v[50:51], v[23:24], -v[55:56]
	v_fma_f64 v[57:58], v[124:125], v[2:3], -v[0:1]
	ds_load_b128 v[0:3], v8 offset:17600
	s_waitcnt lgkmcnt(0)
	v_mul_f64 v[59:60], v[130:131], v[2:3]
	v_add_f64 v[94:95], v[52:53], -v[50:51]
	v_add_f64 v[54:55], v[25:26], -v[57:58]
	s_delay_alu instid0(VALU_DEP_3) | instskip(SKIP_1) | instid1(VALU_DEP_4)
	v_fma_f64 v[59:60], v[128:129], v[0:1], v[59:60]
	v_mul_f64 v[0:1], v[130:131], v[0:1]
	v_fma_f64 v[52:53], v[52:53], 2.0, -v[94:95]
	s_delay_alu instid0(VALU_DEP_4)
	v_fma_f64 v[6:7], v[25:26], 2.0, -v[54:55]
	v_add_f64 v[54:55], v[77:78], v[54:55]
	v_add_f64 v[56:57], v[15:16], -v[59:60]
	v_fma_f64 v[61:62], v[128:129], v[2:3], -v[0:1]
	ds_load_b128 v[0:3], v8 offset:24000
	s_waitcnt lgkmcnt(0)
	v_mul_f64 v[63:64], v[134:135], v[0:1]
	v_fma_f64 v[15:16], v[15:16], 2.0, -v[56:57]
	v_add_f64 v[58:59], v[17:18], -v[61:62]
	s_delay_alu instid0(VALU_DEP_3) | instskip(SKIP_1) | instid1(VALU_DEP_3)
	v_fma_f64 v[63:64], v[132:133], v[2:3], -v[63:64]
	v_mul_f64 v[2:3], v[134:135], v[2:3]
	v_fma_f64 v[17:18], v[17:18], 2.0, -v[58:59]
	s_delay_alu instid0(VALU_DEP_3) | instskip(NEXT) | instid1(VALU_DEP_3)
	v_add_f64 v[60:61], v[33:34], -v[63:64]
	v_fma_f64 v[65:66], v[132:133], v[0:1], v[2:3]
	ds_load_b128 v[0:3], v8
	s_waitcnt lgkmcnt(0)
	s_barrier
	buffer_gl0_inv
	v_add_f64 v[37:38], v[2:3], -v[37:38]
	v_add_f64 v[35:36], v[0:1], -v[35:36]
	;; [unrolled: 1-line block ×3, first 2 shown]
	v_fma_f64 v[64:65], v[4:5], 2.0, -v[77:78]
	v_fma_f64 v[4:5], v[23:24], 2.0, -v[50:51]
	;; [unrolled: 1-line block ×3, first 2 shown]
	v_add_f64 v[33:34], v[96:97], -v[6:7]
	v_add_f64 v[60:61], v[56:57], v[60:61]
	v_fma_f64 v[69:70], v[2:3], 2.0, -v[37:38]
	v_add_f64 v[2:3], v[21:22], -v[41:42]
	v_fma_f64 v[67:68], v[0:1], 2.0, -v[35:36]
	v_add_f64 v[0:1], v[19:20], -v[39:40]
	;; [unrolled: 2-line block ×3, first 2 shown]
	v_add_f64 v[31:32], v[64:65], -v[4:5]
	v_add_f64 v[23:24], v[17:18], -v[23:24]
	v_fma_f64 v[56:57], v[56:57], 2.0, -v[60:61]
	v_fma_f64 v[21:22], v[21:22], 2.0, -v[2:3]
	v_add_f64 v[2:3], v[35:36], v[2:3]
	v_fma_f64 v[19:20], v[19:20], 2.0, -v[0:1]
	v_add_f64 v[0:1], v[37:38], -v[0:1]
	v_add_f64 v[25:26], v[15:16], -v[25:26]
	v_fma_f64 v[50:51], v[62:63], s[2:3], v[94:95]
	v_fma_f64 v[58:59], v[58:59], 2.0, -v[62:63]
	v_add_f64 v[39:40], v[31:32], v[23:24]
	v_fma_f64 v[17:18], v[17:18], 2.0, -v[23:24]
	v_add_f64 v[21:22], v[69:70], -v[21:22]
	v_fma_f64 v[48:49], v[92:93], s[2:3], v[2:3]
	v_add_f64 v[19:20], v[67:68], -v[19:20]
	v_add_f64 v[41:42], v[33:34], -v[25:26]
	v_fma_f64 v[50:51], v[60:61], s[0:1], v[50:51]
	v_fma_f64 v[15:16], v[15:16], 2.0, -v[25:26]
	v_fma_f64 v[88:89], v[31:32], 2.0, -v[39:40]
	v_add_f64 v[6:7], v[21:22], -v[27:28]
	v_fma_f64 v[98:99], v[75:76], s[2:3], v[48:49]
	v_add_f64 v[4:5], v[19:20], v[29:30]
	v_fma_f64 v[48:49], v[75:76], s[2:3], v[0:1]
	s_delay_alu instid0(VALU_DEP_4) | instskip(SKIP_1) | instid1(VALU_DEP_4)
	v_fma_f64 v[46:47], v[41:42], s[2:3], v[6:7]
	v_fma_f64 v[102:103], v[21:22], 2.0, -v[6:7]
	v_fma_f64 v[43:44], v[39:40], s[2:3], v[4:5]
	v_fma_f64 v[100:101], v[19:20], 2.0, -v[4:5]
	v_fma_f64 v[104:105], v[92:93], s[0:1], v[48:49]
	v_fma_f64 v[48:49], v[60:61], s[2:3], v[54:55]
	v_fma_f64 v[19:20], v[67:68], 2.0, -v[19:20]
	v_fma_f64 v[21:22], v[69:70], 2.0, -v[21:22]
	;; [unrolled: 1-line block ×5, first 2 shown]
	v_fma_f64 v[46:47], v[39:40], s[0:1], v[46:47]
	v_fma_f64 v[39:40], v[33:34], 2.0, -v[41:42]
	v_fma_f64 v[44:45], v[41:42], s[2:3], v[43:44]
	v_fma_f64 v[41:42], v[88:89], s[0:1], v[100:101]
	v_fma_f64 v[110:111], v[0:1], 2.0, -v[104:105]
	v_fma_f64 v[48:49], v[62:63], s[2:3], v[48:49]
	v_fma_f64 v[0:1], v[37:38], 2.0, -v[0:1]
	v_fma_f64 v[37:38], v[73:74], 2.0, -v[75:76]
	;; [unrolled: 1-line block ×3, first 2 shown]
	v_fma_f64 v[90:91], v[39:40], s[0:1], v[102:103]
	v_fma_f64 v[4:5], v[4:5], 2.0, -v[44:45]
	v_fma_f64 v[40:41], v[39:40], s[2:3], v[41:42]
	v_fma_f64 v[106:107], v[54:55], 2.0, -v[48:49]
	v_fma_f64 v[54:55], v[77:78], 2.0, -v[54:55]
	v_fma_f64 v[42:43], v[88:89], s[0:1], v[90:91]
	v_fma_f64 v[88:89], v[48:49], s[16:17], v[98:99]
	;; [unrolled: 1-line block ×3, first 2 shown]
	ds_store_b128 v10, v[4:7] offset:960
	v_fma_f64 v[60:61], v[56:57], s[0:1], v[54:55]
	v_fma_f64 v[88:89], v[50:51], s[12:13], v[88:89]
	;; [unrolled: 1-line block ×3, first 2 shown]
	v_fma_f64 v[48:49], v[94:95], 2.0, -v[50:51]
	v_fma_f64 v[50:51], v[106:107], s[14:15], v[108:109]
	v_fma_f64 v[60:61], v[58:59], s[2:3], v[60:61]
	;; [unrolled: 1-line block ×3, first 2 shown]
	v_fma_f64 v[4:5], v[98:99], 2.0, -v[88:89]
	v_fma_f64 v[6:7], v[104:105], 2.0, -v[90:91]
	v_fma_f64 v[112:113], v[48:49], s[14:15], v[110:111]
	v_fma_f64 v[48:49], v[48:49], s[16:17], v[50:51]
	;; [unrolled: 1-line block ×4, first 2 shown]
	ds_store_b128 v10, v[4:7] offset:1120
	v_fma_f64 v[4:5], v[11:12], 2.0, -v[27:28]
	v_fma_f64 v[6:7], v[13:14], 2.0, -v[29:30]
	;; [unrolled: 1-line block ×4, first 2 shown]
	v_fma_f64 v[58:59], v[35:36], s[0:1], v[58:59]
	v_fma_f64 v[35:36], v[35:36], s[0:1], v[2:3]
	v_fma_f64 v[50:51], v[106:107], s[8:9], v[112:113]
	v_fma_f64 v[52:53], v[52:53], 2.0, -v[56:57]
	v_add_f64 v[23:24], v[19:20], -v[4:5]
	v_add_f64 v[25:26], v[21:22], -v[6:7]
	;; [unrolled: 1-line block ×4, first 2 shown]
	v_fma_f64 v[35:36], v[37:38], s[2:3], v[35:36]
	v_fma_f64 v[37:38], v[54:55], 2.0, -v[60:61]
	v_fma_f64 v[54:55], v[56:57], s[12:13], v[58:59]
	v_fma_f64 v[19:20], v[19:20], 2.0, -v[23:24]
	v_fma_f64 v[21:22], v[21:22], 2.0, -v[25:26]
	v_add_f64 v[98:99], v[25:26], -v[15:16]
	v_add_f64 v[96:97], v[23:24], v[17:18]
	v_fma_f64 v[62:63], v[60:61], s[12:13], v[35:36]
	v_fma_f64 v[94:95], v[60:61], s[8:9], v[54:55]
	v_fma_f64 v[54:55], v[2:3], 2.0, -v[35:36]
	v_fma_f64 v[6:7], v[25:26], 2.0, -v[98:99]
	;; [unrolled: 1-line block ×3, first 2 shown]
	v_fma_f64 v[92:93], v[56:57], s[16:17], v[62:63]
	v_fma_f64 v[56:57], v[0:1], 2.0, -v[58:59]
	v_fma_f64 v[0:1], v[37:38], s[8:9], v[54:55]
	ds_store_b128 v10, v[4:7] offset:640
	v_fma_f64 v[4:5], v[11:12], 2.0, -v[15:16]
	v_fma_f64 v[6:7], v[13:14], 2.0, -v[17:18]
	v_fma_f64 v[2:3], v[52:53], s[8:9], v[56:57]
	v_fma_f64 v[0:1], v[52:53], s[12:13], v[0:1]
	s_delay_alu instid0(VALU_DEP_4) | instskip(NEXT) | instid1(VALU_DEP_4)
	v_add_f64 v[4:5], v[19:20], -v[4:5]
	v_add_f64 v[6:7], v[21:22], -v[6:7]
	s_delay_alu instid0(VALU_DEP_4) | instskip(NEXT) | instid1(VALU_DEP_3)
	v_fma_f64 v[2:3], v[37:38], s[14:15], v[2:3]
	v_fma_f64 v[11:12], v[19:20], 2.0, -v[4:5]
	s_delay_alu instid0(VALU_DEP_3)
	v_fma_f64 v[13:14], v[21:22], 2.0, -v[6:7]
	ds_store_b128 v10, v[4:7] offset:1280
	v_fma_f64 v[4:5], v[100:101], 2.0, -v[40:41]
	v_fma_f64 v[6:7], v[102:103], 2.0, -v[42:43]
	ds_store_b128 v10, v[4:7] offset:320
	v_fma_f64 v[4:5], v[108:109], 2.0, -v[48:49]
	v_fma_f64 v[6:7], v[110:111], 2.0, -v[50:51]
	ds_store_b128 v10, v[4:7] offset:480
	v_fma_f64 v[4:5], v[35:36], 2.0, -v[92:93]
	v_fma_f64 v[6:7], v[58:59], 2.0, -v[94:95]
	ds_store_b128 v10, v[4:7] offset:800
	v_fma_f64 v[4:5], v[54:55], 2.0, -v[0:1]
	v_fma_f64 v[6:7], v[56:57], 2.0, -v[2:3]
	ds_store_b128 v10, v[0:3] offset:1440
	ds_store_b128 v10, v[44:47] offset:2240
	;; [unrolled: 1-line block ×7, first 2 shown]
	ds_store_b128 v10, v[11:14]
	ds_store_b128 v10, v[4:7] offset:160
	s_waitcnt lgkmcnt(0)
	s_barrier
	buffer_gl0_inv
	ds_load_b128 v[100:103], v8
	ds_load_b128 v[104:107], v8 offset:2560
	ds_load_b128 v[112:115], v8 offset:5120
	;; [unrolled: 1-line block ×9, first 2 shown]
	s_and_saveexec_b32 s0, vcc_lo
	s_cbranch_execz .LBB0_19
; %bb.18:
	ds_load_b128 v[40:43], v8 offset:1600
	ds_load_b128 v[48:51], v8 offset:4160
	;; [unrolled: 1-line block ×10, first 2 shown]
.LBB0_19:
	s_or_b32 exec_lo, exec_lo, s0
	s_waitcnt lgkmcnt(4)
	v_mul_f64 v[2:3], v[162:163], v[128:129]
	s_waitcnt lgkmcnt(2)
	v_mul_f64 v[4:5], v[166:167], v[132:133]
	v_mul_f64 v[0:1], v[138:139], v[124:125]
	s_waitcnt lgkmcnt(0)
	v_mul_f64 v[6:7], v[170:171], v[172:173]
	v_mul_f64 v[9:10], v[158:159], v[104:105]
	;; [unrolled: 1-line block ×15, first 2 shown]
	s_mov_b32 s2, 0x134454ff
	s_mov_b32 s3, 0xbfee6f0e
	;; [unrolled: 1-line block ×14, first 2 shown]
	v_fma_f64 v[2:3], v[160:161], v[130:131], -v[2:3]
	v_fma_f64 v[4:5], v[164:165], v[134:135], -v[4:5]
	;; [unrolled: 1-line block ×5, first 2 shown]
	v_fma_f64 v[11:12], v[136:137], v[124:125], v[11:12]
	v_fma_f64 v[13:14], v[160:161], v[128:129], v[13:14]
	;; [unrolled: 1-line block ×4, first 2 shown]
	v_fma_f64 v[21:22], v[140:141], v[114:115], -v[21:22]
	v_fma_f64 v[23:24], v[144:145], v[116:117], v[23:24]
	v_fma_f64 v[25:26], v[144:145], v[118:119], -v[25:26]
	v_fma_f64 v[27:28], v[148:149], v[108:109], v[27:28]
	v_fma_f64 v[31:32], v[148:149], v[110:111], -v[31:32]
	v_fma_f64 v[33:34], v[152:153], v[122:123], -v[33:34]
	v_fma_f64 v[35:36], v[156:157], v[104:105], v[35:36]
	v_fma_f64 v[19:20], v[140:141], v[112:113], v[19:20]
	;; [unrolled: 1-line block ×3, first 2 shown]
	v_add_f64 v[37:38], v[2:3], v[4:5]
	v_add_f64 v[72:73], v[0:1], -v[2:3]
	v_add_f64 v[52:53], v[0:1], v[6:7]
	v_add_f64 v[70:71], v[0:1], -v[6:7]
	v_add_f64 v[74:75], v[6:7], -v[4:5]
	v_add_f64 v[76:77], v[2:3], -v[0:1]
	v_add_f64 v[54:55], v[13:14], v[15:16]
	v_add_f64 v[56:57], v[11:12], v[17:18]
	v_add_f64 v[58:59], v[11:12], -v[17:18]
	v_add_f64 v[60:61], v[13:14], -v[15:16]
	;; [unrolled: 1-line block ×3, first 2 shown]
	v_add_f64 v[62:63], v[23:24], v[27:28]
	v_add_f64 v[66:67], v[25:26], v[31:32]
	v_add_f64 v[68:69], v[21:22], v[33:34]
	v_add_f64 v[104:105], v[2:3], -v[4:5]
	v_add_f64 v[110:111], v[100:101], v[19:20]
	v_add_f64 v[64:65], v[19:20], v[29:30]
	;; [unrolled: 1-line block ×4, first 2 shown]
	v_add_f64 v[112:113], v[21:22], -v[33:34]
	v_add_f64 v[118:119], v[11:12], -v[13:14]
	;; [unrolled: 1-line block ×9, first 2 shown]
	v_fma_f64 v[37:38], v[37:38], -0.5, v[9:10]
	v_fma_f64 v[52:53], v[52:53], -0.5, v[9:10]
	v_add_f64 v[72:73], v[72:73], v[74:75]
	v_fma_f64 v[54:55], v[54:55], -0.5, v[35:36]
	v_fma_f64 v[56:57], v[56:57], -0.5, v[35:36]
	v_add_f64 v[35:36], v[35:36], v[11:12]
	v_add_f64 v[11:12], v[13:14], -v[11:12]
	v_add_f64 v[74:75], v[76:77], v[78:79]
	v_fma_f64 v[9:10], v[62:63], -0.5, v[100:101]
	v_add_f64 v[62:63], v[19:20], -v[29:30]
	v_fma_f64 v[66:67], v[66:67], -0.5, v[102:103]
	v_fma_f64 v[68:69], v[68:69], -0.5, v[102:103]
	;; [unrolled: 1-line block ×3, first 2 shown]
	v_add_f64 v[100:101], v[23:24], -v[27:28]
	v_add_f64 v[25:26], v[116:117], v[25:26]
	v_add_f64 v[0:1], v[0:1], v[2:3]
	v_add_f64 v[21:22], v[21:22], v[128:129]
	v_fma_f64 v[106:107], v[58:59], s[0:1], v[37:38]
	v_fma_f64 v[37:38], v[58:59], s[2:3], v[37:38]
	;; [unrolled: 1-line block ×8, first 2 shown]
	v_add_f64 v[13:14], v[35:36], v[13:14]
	v_add_f64 v[35:36], v[118:119], v[120:121]
	;; [unrolled: 1-line block ×3, first 2 shown]
	v_fma_f64 v[2:3], v[112:113], s[2:3], v[9:10]
	v_fma_f64 v[116:117], v[62:63], s[0:1], v[66:67]
	;; [unrolled: 1-line block ×6, first 2 shown]
	v_add_f64 v[25:26], v[25:26], v[31:32]
	v_add_f64 v[0:1], v[0:1], v[4:5]
	v_fma_f64 v[102:103], v[60:61], s[8:9], v[106:107]
	v_fma_f64 v[37:38], v[60:61], s[12:13], v[37:38]
	v_fma_f64 v[106:107], v[58:59], s[8:9], v[108:109]
	v_fma_f64 v[52:53], v[58:59], s[12:13], v[52:53]
	v_add_f64 v[58:59], v[19:20], -v[23:24]
	v_add_f64 v[19:20], v[23:24], -v[19:20]
	v_add_f64 v[23:24], v[110:111], v[23:24]
	v_add_f64 v[60:61], v[29:30], -v[27:28]
	v_fma_f64 v[76:77], v[104:105], s[12:13], v[76:77]
	v_fma_f64 v[54:55], v[104:105], s[8:9], v[54:55]
	;; [unrolled: 1-line block ×4, first 2 shown]
	v_add_f64 v[108:109], v[27:28], -v[29:30]
	v_fma_f64 v[110:111], v[114:115], s[0:1], v[64:65]
	v_fma_f64 v[64:65], v[114:115], s[2:3], v[64:65]
	v_add_f64 v[13:14], v[13:14], v[15:16]
	v_fma_f64 v[2:3], v[114:115], s[12:13], v[2:3]
	v_fma_f64 v[31:32], v[100:101], s[12:13], v[66:67]
	;; [unrolled: 1-line block ×3, first 2 shown]
	v_add_f64 v[25:26], v[25:26], v[33:34]
	v_add_f64 v[6:7], v[0:1], v[6:7]
	v_fma_f64 v[70:71], v[72:73], s[14:15], v[102:103]
	v_fma_f64 v[37:38], v[72:73], s[14:15], v[37:38]
	;; [unrolled: 1-line block ×4, first 2 shown]
	v_add_f64 v[23:24], v[23:24], v[27:28]
	v_add_f64 v[58:59], v[58:59], v[60:61]
	;; [unrolled: 1-line block ×3, first 2 shown]
	v_fma_f64 v[27:28], v[100:101], s[8:9], v[116:117]
	v_fma_f64 v[66:67], v[35:36], s[14:15], v[76:77]
	;; [unrolled: 1-line block ×5, first 2 shown]
	v_add_f64 v[19:20], v[19:20], v[108:109]
	v_fma_f64 v[9:10], v[112:113], s[12:13], v[110:111]
	v_fma_f64 v[15:16], v[112:113], s[8:9], v[64:65]
	;; [unrolled: 1-line block ×4, first 2 shown]
	v_add_f64 v[13:14], v[13:14], v[17:18]
	v_mul_f64 v[56:57], v[70:71], s[12:13]
	v_mul_f64 v[70:71], v[70:71], s[16:17]
	;; [unrolled: 1-line block ×8, first 2 shown]
	v_add_f64 v[23:24], v[23:24], v[29:30]
	v_fma_f64 v[29:30], v[58:59], s[14:15], v[2:3]
	v_fma_f64 v[27:28], v[60:61], s[14:15], v[27:28]
	;; [unrolled: 1-line block ×4, first 2 shown]
	v_add_f64 v[2:3], v[25:26], v[6:7]
	v_add_f64 v[6:7], v[25:26], -v[6:7]
	v_fma_f64 v[58:59], v[19:20], s[14:15], v[9:10]
	v_fma_f64 v[78:79], v[19:20], s[14:15], v[15:16]
	;; [unrolled: 1-line block ×12, first 2 shown]
	v_add_f64 v[0:1], v[23:24], v[13:14]
	v_add_f64 v[4:5], v[23:24], -v[13:14]
	v_add_f64 v[9:10], v[29:30], v[56:57]
	v_add_f64 v[11:12], v[27:28], v[66:67]
	;; [unrolled: 1-line block ×8, first 2 shown]
	v_add_f64 v[25:26], v[29:30], -v[56:57]
	v_add_f64 v[27:28], v[27:28], -v[66:67]
	;; [unrolled: 1-line block ×8, first 2 shown]
	ds_store_b128 v8, v[0:3]
	ds_store_b128 v8, v[9:12] offset:2560
	ds_store_b128 v8, v[13:16] offset:5120
	;; [unrolled: 1-line block ×9, first 2 shown]
	s_and_saveexec_b32 s22, vcc_lo
	s_cbranch_execz .LBB0_21
; %bb.20:
	s_clause 0x6
	scratch_load_b128 v[72:75], off, off offset:304
	scratch_load_b128 v[68:71], off, off offset:288
	;; [unrolled: 1-line block ×7, first 2 shown]
	v_mul_f64 v[2:3], v[82:83], v[88:89]
	v_mul_f64 v[4:5], v[86:87], v[220:221]
	;; [unrolled: 1-line block ×4, first 2 shown]
	s_delay_alu instid0(VALU_DEP_4) | instskip(NEXT) | instid1(VALU_DEP_4)
	v_fma_f64 v[2:3], v[80:81], v[90:91], -v[2:3]
	v_fma_f64 v[4:5], v[84:85], v[222:223], -v[4:5]
	s_delay_alu instid0(VALU_DEP_4) | instskip(NEXT) | instid1(VALU_DEP_4)
	v_fma_f64 v[11:12], v[80:81], v[88:89], v[11:12]
	v_fma_f64 v[15:16], v[84:85], v[220:221], v[15:16]
	s_delay_alu instid0(VALU_DEP_3)
	v_add_f64 v[37:38], v[2:3], v[4:5]
	s_waitcnt vmcnt(6)
	v_mul_f64 v[0:1], v[74:75], v[92:93]
	v_mul_f64 v[9:10], v[74:75], v[94:95]
	s_waitcnt vmcnt(4)
	v_mul_f64 v[6:7], v[78:79], v[224:225]
	v_mul_f64 v[13:14], v[78:79], v[226:227]
	s_waitcnt vmcnt(3)
	v_mul_f64 v[17:18], v[54:55], v[48:49]
	s_waitcnt vmcnt(2)
	;; [unrolled: 2-line block ×4, first 2 shown]
	v_mul_f64 v[23:24], v[66:67], v[212:213]
	v_mul_f64 v[25:26], v[70:71], v[216:217]
	;; [unrolled: 1-line block ×7, first 2 shown]
	v_add_f64 v[58:59], v[2:3], -v[4:5]
	v_fma_f64 v[0:1], v[72:73], v[94:95], -v[0:1]
	v_fma_f64 v[9:10], v[72:73], v[92:93], v[9:10]
	v_fma_f64 v[6:7], v[76:77], v[226:227], -v[6:7]
	v_fma_f64 v[13:14], v[76:77], v[224:225], v[13:14]
	v_fma_f64 v[17:18], v[52:53], v[50:51], -v[17:18]
	v_fma_f64 v[19:20], v[56:57], v[98:99], -v[19:20]
	;; [unrolled: 1-line block ×5, first 2 shown]
	v_fma_f64 v[27:28], v[56:57], v[96:97], v[27:28]
	v_fma_f64 v[29:30], v[68:69], v[216:217], v[29:30]
	;; [unrolled: 1-line block ×5, first 2 shown]
	v_add_f64 v[44:45], v[11:12], v[15:16]
	v_add_f64 v[52:53], v[11:12], -v[15:16]
	v_add_f64 v[60:61], v[0:1], -v[2:3]
	;; [unrolled: 1-line block ×3, first 2 shown]
	v_add_f64 v[50:51], v[6:7], v[0:1]
	v_add_f64 v[46:47], v[9:10], -v[13:14]
	v_add_f64 v[48:49], v[13:14], v[9:10]
	v_fma_f64 v[37:38], v[37:38], -0.5, v[17:18]
	v_add_f64 v[56:57], v[0:1], -v[6:7]
	v_add_f64 v[54:55], v[23:24], v[21:22]
	v_add_f64 v[62:63], v[6:7], -v[4:5]
	v_add_f64 v[64:65], v[25:26], v[19:20]
	v_add_f64 v[68:69], v[4:5], -v[6:7]
	v_add_f64 v[72:73], v[29:30], v[27:28]
	v_add_f64 v[70:71], v[33:34], v[31:32]
	v_add_f64 v[82:83], v[9:10], -v[11:12]
	v_fma_f64 v[44:45], v[44:45], -0.5, v[35:36]
	v_add_f64 v[86:87], v[11:12], -v[9:10]
	v_add_f64 v[90:91], v[19:20], v[42:43]
	v_add_f64 v[0:1], v[0:1], v[17:18]
	;; [unrolled: 1-line block ×4, first 2 shown]
	v_add_f64 v[78:79], v[27:28], -v[29:30]
	v_add_f64 v[80:81], v[31:32], -v[33:34]
	v_add_f64 v[84:85], v[13:14], -v[15:16]
	v_add_f64 v[88:89], v[15:16], -v[13:14]
	v_add_f64 v[92:93], v[21:22], -v[23:24]
	v_add_f64 v[96:97], v[33:34], -v[29:30]
	v_fma_f64 v[50:51], v[50:51], -0.5, v[17:18]
	v_add_f64 v[17:18], v[19:20], -v[25:26]
	v_fma_f64 v[48:49], v[48:49], -0.5, v[35:36]
	v_fma_f64 v[74:75], v[46:47], s[2:3], v[37:38]
	v_fma_f64 v[37:38], v[46:47], s[0:1], v[37:38]
	v_fma_f64 v[35:36], v[54:55], -0.5, v[42:43]
	v_add_f64 v[54:55], v[62:63], v[60:61]
	v_fma_f64 v[42:43], v[64:65], -0.5, v[42:43]
	v_add_f64 v[60:61], v[68:69], v[66:67]
	v_fma_f64 v[62:63], v[70:71], -0.5, v[40:41]
	v_fma_f64 v[39:40], v[72:73], -0.5, v[40:41]
	v_fma_f64 v[64:65], v[56:57], s[0:1], v[44:45]
	v_fma_f64 v[44:45], v[56:57], s[2:3], v[44:45]
	v_add_f64 v[72:73], v[23:24], -v[25:26]
	v_add_f64 v[0:1], v[2:3], v[0:1]
	v_add_f64 v[2:3], v[31:32], v[94:95]
	;; [unrolled: 1-line block ×5, first 2 shown]
	v_fma_f64 v[76:77], v[52:53], s[0:1], v[50:51]
	v_fma_f64 v[50:51], v[52:53], s[2:3], v[50:51]
	;; [unrolled: 1-line block ×6, first 2 shown]
	v_add_f64 v[52:53], v[25:26], -v[23:24]
	v_add_f64 v[74:75], v[27:28], -v[31:32]
	;; [unrolled: 1-line block ×3, first 2 shown]
	v_fma_f64 v[11:12], v[78:79], s[2:3], v[35:36]
	v_fma_f64 v[31:32], v[80:81], s[0:1], v[42:43]
	;; [unrolled: 1-line block ×9, first 2 shown]
	v_add_f64 v[0:1], v[4:5], v[0:1]
	v_add_f64 v[2:3], v[33:34], v[2:3]
	v_add_f64 v[4:5], v[15:16], v[9:10]
	v_fma_f64 v[70:71], v[46:47], s[12:13], v[76:77]
	v_fma_f64 v[46:47], v[46:47], s[8:9], v[50:51]
	v_add_f64 v[50:51], v[19:20], -v[21:22]
	v_add_f64 v[19:20], v[21:22], -v[19:20]
	v_add_f64 v[21:22], v[21:22], v[90:91]
	v_add_f64 v[76:77], v[29:30], -v[33:34]
	v_fma_f64 v[66:67], v[56:57], s[8:9], v[66:67]
	v_fma_f64 v[48:49], v[56:57], s[12:13], v[48:49]
	;; [unrolled: 1-line block ×9, first 2 shown]
	v_add_f64 v[27:28], v[96:97], v[27:28]
	v_fma_f64 v[43:44], v[82:83], s[14:15], v[43:44]
	v_add_f64 v[6:7], v[6:7], v[0:1]
	v_add_f64 v[4:5], v[13:14], v[4:5]
	v_fma_f64 v[68:69], v[60:61], s[14:15], v[70:71]
	v_fma_f64 v[46:47], v[60:61], s[14:15], v[46:47]
	;; [unrolled: 1-line block ×3, first 2 shown]
	v_add_f64 v[50:51], v[52:53], v[50:51]
	v_add_f64 v[21:22], v[23:24], v[21:22]
	v_add_f64 v[52:53], v[76:77], v[74:75]
	v_fma_f64 v[23:24], v[80:81], s[8:9], v[35:36]
	v_fma_f64 v[41:42], v[84:85], s[14:15], v[66:67]
	;; [unrolled: 1-line block ×3, first 2 shown]
	v_add_f64 v[19:20], v[72:73], v[19:20]
	v_fma_f64 v[35:36], v[82:83], s[14:15], v[64:65]
	v_fma_f64 v[48:49], v[84:85], s[14:15], v[48:49]
	v_mul_f64 v[54:55], v[56:57], s[20:21]
	v_mul_f64 v[56:57], v[56:57], s[12:13]
	v_fma_f64 v[33:34], v[27:28], s[14:15], v[33:34]
	v_mul_f64 v[58:59], v[68:69], s[18:19]
	v_mul_f64 v[62:63], v[46:47], s[14:15]
	;; [unrolled: 3-line block ×3, first 2 shown]
	v_mul_f64 v[45:46], v[46:47], s[2:3]
	v_mul_f64 v[64:65], v[68:69], s[2:3]
	v_add_f64 v[21:22], v[25:26], v[21:22]
	v_add_f64 v[25:26], v[29:30], v[2:3]
	v_fma_f64 v[9:10], v[50:51], s[14:15], v[9:10]
	v_fma_f64 v[50:51], v[50:51], s[14:15], v[23:24]
	;; [unrolled: 1-line block ×15, first 2 shown]
	v_add_f64 v[2:3], v[21:22], -v[6:7]
	v_add_f64 v[0:1], v[25:26], -v[4:5]
	v_add_f64 v[6:7], v[21:22], v[6:7]
	v_add_f64 v[4:5], v[25:26], v[4:5]
	v_add_f64 v[11:12], v[9:10], -v[23:24]
	v_add_f64 v[23:24], v[9:10], v[23:24]
	v_add_f64 v[21:22], v[66:67], v[35:36]
	v_add_f64 v[9:10], v[66:67], -v[35:36]
	v_add_f64 v[15:16], v[13:14], -v[31:32]
	;; [unrolled: 1-line block ×3, first 2 shown]
	v_add_f64 v[27:28], v[13:14], v[31:32]
	v_add_f64 v[42:43], v[50:51], v[58:59]
	;; [unrolled: 1-line block ×6, first 2 shown]
	v_add_f64 v[46:47], v[50:51], -v[58:59]
	v_add_f64 v[44:45], v[52:53], -v[37:38]
	;; [unrolled: 1-line block ×4, first 2 shown]
	ds_store_b128 v8, v[4:7] offset:1600
	ds_store_b128 v8, v[40:43] offset:4160
	ds_store_b128 v8, v[29:32] offset:6720
	ds_store_b128 v8, v[25:28] offset:9280
	ds_store_b128 v8, v[21:24] offset:11840
	ds_store_b128 v8, v[0:3] offset:14400
	ds_store_b128 v8, v[44:47] offset:16960
	ds_store_b128 v8, v[17:20] offset:19520
	ds_store_b128 v8, v[13:16] offset:22080
	ds_store_b128 v8, v[9:12] offset:24640
.LBB0_21:
	s_or_b32 exec_lo, exec_lo, s22
	s_waitcnt lgkmcnt(0)
	s_barrier
	buffer_gl0_inv
	ds_load_b128 v[0:3], v8
	ds_load_b128 v[4:7], v8 offset:2560
	ds_load_b128 v[9:12], v8 offset:5120
	;; [unrolled: 1-line block ×3, first 2 shown]
	scratch_load_b64 v[17:18], off, off offset:16 ; 8-byte Folded Reload
	v_mad_u64_u32 v[60:61], null, s4, v254, 0
	s_mul_i32 s1, s5, 0xa0
	s_mul_i32 s0, s4, 0xa0
	s_mov_b32 s2, 0x47ae147b
	s_mov_b32 s3, 0x3f447ae1
	s_mul_i32 s8, s5, 0x1400
	s_waitcnt vmcnt(0)
	v_mov_b32_e32 v72, v17
	ds_load_b128 v[17:20], v8 offset:10240
	ds_load_b128 v[21:24], v8 offset:12800
	s_clause 0x3
	scratch_load_b128 v[92:95], off, off offset:64
	scratch_load_b128 v[88:91], off, off offset:48
	;; [unrolled: 1-line block ×4, first 2 shown]
	ds_load_b128 v[25:28], v8 offset:15360
	ds_load_b128 v[29:32], v8 offset:17920
	;; [unrolled: 1-line block ×4, first 2 shown]
	v_mad_u64_u32 v[33:34], null, s6, v72, 0
	scratch_load_b128 v[110:113], off, off offset:176 ; 16-byte Folded Reload
	s_mul_hi_u32 s6, s4, 0xa0
	s_delay_alu instid0(SALU_CYCLE_1)
	s_add_i32 s1, s6, s1
	s_waitcnt vmcnt(4) lgkmcnt(9)
	v_mul_f64 v[35:36], v[94:95], v[2:3]
	v_mul_f64 v[46:47], v[94:95], v[0:1]
	s_waitcnt vmcnt(2) lgkmcnt(7)
	v_mul_f64 v[52:53], v[102:103], v[11:12]
	v_mul_f64 v[54:55], v[102:103], v[9:10]
	s_clause 0x1
	scratch_load_b128 v[94:97], off, off offset:80
	scratch_load_b128 v[102:105], off, off offset:128
	s_waitcnt vmcnt(3) lgkmcnt(6)
	v_mul_f64 v[56:57], v[116:117], v[15:16]
	v_mul_f64 v[58:59], v[116:117], v[13:14]
	;; [unrolled: 1-line block ×4, first 2 shown]
	v_mad_u64_u32 v[70:71], null, s7, v72, v[34:35]
	v_mov_b32_e32 v37, v61
	v_fma_f64 v[0:1], v[92:93], v[0:1], v[35:36]
	v_fma_f64 v[2:3], v[92:93], v[2:3], -v[46:47]
	v_fma_f64 v[9:10], v[100:101], v[9:10], v[52:53]
	v_fma_f64 v[13:14], v[114:115], v[13:14], v[56:57]
	scratch_load_b32 v56, off, off offset:32 ; 4-byte Folded Reload
	v_mov_b32_e32 v34, v70
	s_waitcnt lgkmcnt(1)
	v_mad_u64_u32 v[71:72], null, s5, v254, v[37:38]
	v_fma_f64 v[4:5], v[88:89], v[4:5], v[48:49]
	v_fma_f64 v[6:7], v[88:89], v[6:7], -v[50:51]
	v_fma_f64 v[11:12], v[100:101], v[11:12], -v[54:55]
	;; [unrolled: 1-line block ×3, first 2 shown]
	v_lshlrev_b64 v[33:34], 4, v[33:34]
	s_lshl_b64 s[6:7], s[0:1], 4
	v_mov_b32_e32 v61, v71
	scratch_load_b32 v71, off, off offset:44 ; 4-byte Folded Reload
	v_lshlrev_b64 v[35:36], 4, v[60:61]
	v_add_co_u32 v61, s0, s10, v33
	s_delay_alu instid0(VALU_DEP_1) | instskip(NEXT) | instid1(VALU_DEP_2)
	v_add_co_ci_u32_e64 v70, s0, s11, v34, s0
	v_add_co_u32 v50, s0, v61, v35
	s_delay_alu instid0(VALU_DEP_1)
	v_add_co_ci_u32_e64 v51, s0, v70, v36, s0
	v_mul_f64 v[0:1], v[0:1], s[2:3]
	v_mul_f64 v[2:3], v[2:3], s[2:3]
	;; [unrolled: 1-line block ×8, first 2 shown]
	s_waitcnt vmcnt(3)
	v_mul_f64 v[62:63], v[96:97], v[19:20]
	v_mul_f64 v[64:65], v[96:97], v[17:18]
	scratch_load_b128 v[96:99], off, off offset:96 ; 16-byte Folded Reload
	s_waitcnt vmcnt(3)
	v_mul_f64 v[66:67], v[104:105], v[23:24]
	v_mul_f64 v[68:69], v[104:105], v[21:22]
	scratch_load_b128 v[104:107], off, off offset:144 ; 16-byte Folded Reload
	v_mul_f64 v[72:73], v[112:113], v[27:28]
	v_mul_f64 v[74:75], v[112:113], v[25:26]
	v_fma_f64 v[17:18], v[94:95], v[17:18], v[62:63]
	v_fma_f64 v[19:20], v[94:95], v[19:20], -v[64:65]
	v_fma_f64 v[21:22], v[102:103], v[21:22], v[66:67]
	v_fma_f64 v[23:24], v[102:103], v[23:24], -v[68:69]
	s_waitcnt vmcnt(3)
	v_mad_u64_u32 v[46:47], null, s4, v56, 0
	v_fma_f64 v[25:26], v[110:111], v[25:26], v[72:73]
	v_fma_f64 v[27:28], v[110:111], v[27:28], -v[74:75]
	s_waitcnt vmcnt(2)
	v_mad_u64_u32 v[48:49], null, s4, v71, 0
	v_mul_f64 v[17:18], v[17:18], s[2:3]
	v_mul_f64 v[19:20], v[19:20], s[2:3]
	;; [unrolled: 1-line block ×6, first 2 shown]
	s_waitcnt vmcnt(1)
	v_mul_f64 v[80:81], v[98:99], v[40:41]
	v_mul_f64 v[82:83], v[98:99], v[38:39]
	s_waitcnt vmcnt(0)
	v_mul_f64 v[76:77], v[106:107], v[31:32]
	v_mul_f64 v[78:79], v[106:107], v[29:30]
	scratch_load_b128 v[106:109], off, off offset:160 ; 16-byte Folded Reload
	v_fma_f64 v[33:34], v[96:97], v[38:39], v[80:81]
	v_fma_f64 v[35:36], v[96:97], v[40:41], -v[82:83]
	v_mov_b32_e32 v41, v47
	v_fma_f64 v[29:30], v[104:105], v[29:30], v[76:77]
	v_fma_f64 v[31:32], v[104:105], v[31:32], -v[78:79]
	v_mul_f64 v[33:34], v[33:34], s[2:3]
	v_mul_f64 v[35:36], v[35:36], s[2:3]
	s_delay_alu instid0(VALU_DEP_4) | instskip(NEXT) | instid1(VALU_DEP_4)
	v_mul_f64 v[29:30], v[29:30], s[2:3]
	v_mul_f64 v[31:32], v[31:32], s[2:3]
	s_waitcnt vmcnt(0) lgkmcnt(0)
	v_mul_f64 v[84:85], v[108:109], v[44:45]
	v_mul_f64 v[86:87], v[108:109], v[42:43]
	s_delay_alu instid0(VALU_DEP_2) | instskip(NEXT) | instid1(VALU_DEP_2)
	v_fma_f64 v[37:38], v[106:107], v[42:43], v[84:85]
	v_fma_f64 v[39:40], v[106:107], v[44:45], -v[86:87]
	v_mov_b32_e32 v44, v49
	v_add_co_u32 v42, s0, v50, s6
	s_delay_alu instid0(VALU_DEP_1) | instskip(NEXT) | instid1(VALU_DEP_3)
	v_add_co_ci_u32_e64 v43, s0, s7, v51, s0
	v_mad_u64_u32 v[59:60], null, s5, v71, v[44:45]
	s_delay_alu instid0(VALU_DEP_3) | instskip(NEXT) | instid1(VALU_DEP_1)
	v_add_co_u32 v52, s0, v42, s6
	v_add_co_ci_u32_e64 v53, s0, s7, v43, s0
	v_mad_u64_u32 v[54:55], null, s5, v56, v[41:42]
	s_delay_alu instid0(VALU_DEP_3) | instskip(NEXT) | instid1(VALU_DEP_1)
	v_add_co_u32 v55, s0, v52, s6
	v_add_co_ci_u32_e64 v56, s0, s7, v53, s0
	s_clause 0x3
	global_store_b128 v[50:51], v[0:3], off
	global_store_b128 v[42:43], v[4:7], off
	global_store_b128 v[52:53], v[9:12], off
	global_store_b128 v[55:56], v[13:16], off
	v_mov_b32_e32 v49, v59
	v_mad_u64_u32 v[57:58], null, 0x1400, s4, v[55:56]
	v_mov_b32_e32 v47, v54
	s_delay_alu instid0(VALU_DEP_3) | instskip(NEXT) | instid1(VALU_DEP_3)
	v_lshlrev_b64 v[9:10], 4, v[48:49]
	v_add_nc_u32_e32 v58, s8, v58
	s_delay_alu instid0(VALU_DEP_4) | instskip(NEXT) | instid1(VALU_DEP_4)
	v_add_co_u32 v2, s0, v57, s6
	v_lshlrev_b64 v[0:1], 4, v[46:47]
	s_delay_alu instid0(VALU_DEP_3) | instskip(NEXT) | instid1(VALU_DEP_3)
	v_add_co_ci_u32_e64 v3, s0, s7, v58, s0
	v_add_co_u32 v4, s0, v2, s6
	v_mul_f64 v[37:38], v[37:38], s[2:3]
	v_mul_f64 v[39:40], v[39:40], s[2:3]
	s_delay_alu instid0(VALU_DEP_4) | instskip(SKIP_1) | instid1(VALU_DEP_1)
	v_add_co_ci_u32_e64 v5, s0, s7, v3, s0
	v_add_co_u32 v6, s0, v61, v0
	v_add_co_ci_u32_e64 v7, s0, v70, v1, s0
	s_delay_alu instid0(VALU_DEP_3) | instskip(SKIP_4) | instid1(VALU_DEP_1)
	v_mad_u64_u32 v[0:1], null, 0x1400, s4, v[4:5]
	s_clause 0x1
	global_store_b128 v[6:7], v[17:20], off
	global_store_b128 v[57:58], v[21:24], off
	v_add_co_u32 v6, s0, v61, v9
	v_add_co_ci_u32_e64 v7, s0, v70, v10, s0
	v_add_nc_u32_e32 v1, s8, v1
	global_store_b128 v[2:3], v[25:28], off
	global_store_b128 v[4:5], v[29:32], off
	;; [unrolled: 1-line block ×4, first 2 shown]
	s_and_b32 exec_lo, exec_lo, vcc_lo
	s_cbranch_execz .LBB0_23
; %bb.22:
	global_load_b128 v[2:5], v[252:253], off offset:1600
	ds_load_b128 v[9:12], v8 offset:1600
	ds_load_b128 v[13:16], v8 offset:4160
	s_mul_i32 s0, s5, 0xffffac40
	s_delay_alu instid0(SALU_CYCLE_1) | instskip(SKIP_3) | instid1(VALU_DEP_2)
	s_sub_i32 s0, s0, s4
	s_waitcnt vmcnt(0) lgkmcnt(1)
	v_mul_f64 v[6:7], v[11:12], v[4:5]
	v_mul_f64 v[4:5], v[9:10], v[4:5]
	v_fma_f64 v[6:7], v[9:10], v[2:3], v[6:7]
	scratch_load_b64 v[9:10], off, off offset:36 ; 8-byte Folded Reload
	v_fma_f64 v[4:5], v[2:3], v[11:12], -v[4:5]
	v_mul_f64 v[2:3], v[6:7], s[2:3]
	v_mad_u64_u32 v[6:7], null, 0xffffac40, s4, v[0:1]
	s_delay_alu instid0(VALU_DEP_3) | instskip(NEXT) | instid1(VALU_DEP_2)
	v_mul_f64 v[4:5], v[4:5], s[2:3]
	v_add_nc_u32_e32 v7, s0, v7
	global_store_b128 v[6:7], v[2:5], off
	s_waitcnt vmcnt(0)
	global_load_b128 v[0:3], v[9:10], off offset:64
	s_waitcnt vmcnt(0) lgkmcnt(0)
	v_mul_f64 v[4:5], v[15:16], v[2:3]
	v_mul_f64 v[2:3], v[13:14], v[2:3]
	s_delay_alu instid0(VALU_DEP_2) | instskip(NEXT) | instid1(VALU_DEP_2)
	v_fma_f64 v[4:5], v[13:14], v[0:1], v[4:5]
	v_fma_f64 v[2:3], v[0:1], v[15:16], -v[2:3]
	v_add_co_u32 v13, vcc_lo, v6, s6
	v_add_co_ci_u32_e32 v14, vcc_lo, s7, v7, vcc_lo
	s_delay_alu instid0(VALU_DEP_4) | instskip(NEXT) | instid1(VALU_DEP_4)
	v_mul_f64 v[0:1], v[4:5], s[2:3]
	v_mul_f64 v[2:3], v[2:3], s[2:3]
	global_store_b128 v[13:14], v[0:3], off
	global_load_b128 v[0:3], v[9:10], off offset:2624
	ds_load_b128 v[4:7], v8 offset:6720
	ds_load_b128 v[9:12], v8 offset:9280
	s_waitcnt vmcnt(0) lgkmcnt(1)
	v_mul_f64 v[15:16], v[6:7], v[2:3]
	v_mul_f64 v[2:3], v[4:5], v[2:3]
	s_delay_alu instid0(VALU_DEP_2) | instskip(NEXT) | instid1(VALU_DEP_2)
	v_fma_f64 v[4:5], v[4:5], v[0:1], v[15:16]
	v_fma_f64 v[2:3], v[0:1], v[6:7], -v[2:3]
	s_delay_alu instid0(VALU_DEP_2) | instskip(NEXT) | instid1(VALU_DEP_2)
	v_mul_f64 v[0:1], v[4:5], s[2:3]
	v_mul_f64 v[2:3], v[2:3], s[2:3]
	v_add_co_u32 v4, vcc_lo, v13, s6
	v_add_co_ci_u32_e32 v5, vcc_lo, s7, v14, vcc_lo
	v_add_co_u32 v6, vcc_lo, 0x2000, v252
	v_add_co_ci_u32_e32 v7, vcc_lo, 0, v253, vcc_lo
	global_store_b128 v[4:5], v[0:3], off
	global_load_b128 v[0:3], v[6:7], off offset:1088
	s_waitcnt vmcnt(0) lgkmcnt(0)
	v_mul_f64 v[13:14], v[11:12], v[2:3]
	v_mul_f64 v[2:3], v[9:10], v[2:3]
	s_delay_alu instid0(VALU_DEP_2) | instskip(NEXT) | instid1(VALU_DEP_2)
	v_fma_f64 v[9:10], v[9:10], v[0:1], v[13:14]
	v_fma_f64 v[2:3], v[0:1], v[11:12], -v[2:3]
	v_add_co_u32 v13, vcc_lo, v4, s6
	v_add_co_ci_u32_e32 v14, vcc_lo, s7, v5, vcc_lo
	s_delay_alu instid0(VALU_DEP_4) | instskip(NEXT) | instid1(VALU_DEP_4)
	v_mul_f64 v[0:1], v[9:10], s[2:3]
	v_mul_f64 v[2:3], v[2:3], s[2:3]
	global_store_b128 v[13:14], v[0:3], off
	global_load_b128 v[0:3], v[6:7], off offset:3648
	ds_load_b128 v[4:7], v8 offset:11840
	ds_load_b128 v[9:12], v8 offset:14400
	scratch_load_b64 v[17:18], off, off     ; 8-byte Folded Reload
	s_waitcnt vmcnt(1) lgkmcnt(1)
	v_mul_f64 v[15:16], v[6:7], v[2:3]
	v_mul_f64 v[2:3], v[4:5], v[2:3]
	s_delay_alu instid0(VALU_DEP_2) | instskip(NEXT) | instid1(VALU_DEP_2)
	v_fma_f64 v[4:5], v[4:5], v[0:1], v[15:16]
	v_fma_f64 v[2:3], v[0:1], v[6:7], -v[2:3]
	s_delay_alu instid0(VALU_DEP_2) | instskip(NEXT) | instid1(VALU_DEP_2)
	v_mul_f64 v[0:1], v[4:5], s[2:3]
	v_mul_f64 v[2:3], v[2:3], s[2:3]
	v_add_co_u32 v4, vcc_lo, v13, s6
	v_add_co_ci_u32_e32 v5, vcc_lo, s7, v14, vcc_lo
	s_delay_alu instid0(VALU_DEP_2) | instskip(NEXT) | instid1(VALU_DEP_2)
	v_add_co_u32 v13, vcc_lo, v4, s6
	v_add_co_ci_u32_e32 v14, vcc_lo, s7, v5, vcc_lo
	global_store_b128 v[4:5], v[0:3], off
	scratch_load_b64 v[0:1], off, off offset:24 ; 8-byte Folded Reload
	s_waitcnt vmcnt(0)
	global_load_b128 v[0:3], v[0:1], off offset:2112
	s_waitcnt vmcnt(0) lgkmcnt(0)
	v_mul_f64 v[6:7], v[11:12], v[2:3]
	v_mul_f64 v[2:3], v[9:10], v[2:3]
	s_delay_alu instid0(VALU_DEP_2) | instskip(NEXT) | instid1(VALU_DEP_2)
	v_fma_f64 v[6:7], v[9:10], v[0:1], v[6:7]
	v_fma_f64 v[2:3], v[0:1], v[11:12], -v[2:3]
	s_delay_alu instid0(VALU_DEP_2) | instskip(NEXT) | instid1(VALU_DEP_2)
	v_mul_f64 v[0:1], v[6:7], s[2:3]
	v_mul_f64 v[2:3], v[2:3], s[2:3]
	global_store_b128 v[13:14], v[0:3], off
	global_load_b128 v[0:3], v[17:18], off offset:576
	ds_load_b128 v[4:7], v8 offset:16960
	ds_load_b128 v[9:12], v8 offset:19520
	s_waitcnt vmcnt(0) lgkmcnt(1)
	v_mul_f64 v[15:16], v[6:7], v[2:3]
	v_mul_f64 v[2:3], v[4:5], v[2:3]
	s_delay_alu instid0(VALU_DEP_2) | instskip(NEXT) | instid1(VALU_DEP_2)
	v_fma_f64 v[4:5], v[4:5], v[0:1], v[15:16]
	v_fma_f64 v[2:3], v[0:1], v[6:7], -v[2:3]
	s_delay_alu instid0(VALU_DEP_2) | instskip(NEXT) | instid1(VALU_DEP_2)
	v_mul_f64 v[0:1], v[4:5], s[2:3]
	v_mul_f64 v[2:3], v[2:3], s[2:3]
	v_add_co_u32 v4, vcc_lo, v13, s6
	v_add_co_ci_u32_e32 v5, vcc_lo, s7, v14, vcc_lo
	global_store_b128 v[4:5], v[0:3], off
	global_load_b128 v[0:3], v[17:18], off offset:3136
	s_waitcnt vmcnt(0) lgkmcnt(0)
	v_mul_f64 v[6:7], v[11:12], v[2:3]
	v_mul_f64 v[2:3], v[9:10], v[2:3]
	s_delay_alu instid0(VALU_DEP_2) | instskip(NEXT) | instid1(VALU_DEP_2)
	v_fma_f64 v[6:7], v[9:10], v[0:1], v[6:7]
	v_fma_f64 v[2:3], v[0:1], v[11:12], -v[2:3]
	v_add_co_u32 v12, vcc_lo, v4, s6
	v_add_co_ci_u32_e32 v13, vcc_lo, s7, v5, vcc_lo
	s_delay_alu instid0(VALU_DEP_4) | instskip(NEXT) | instid1(VALU_DEP_4)
	v_mul_f64 v[0:1], v[6:7], s[2:3]
	v_mul_f64 v[2:3], v[2:3], s[2:3]
	global_store_b128 v[12:13], v[0:3], off
	scratch_load_b64 v[0:1], off, off offset:8 ; 8-byte Folded Reload
	s_waitcnt vmcnt(0)
	global_load_b128 v[0:3], v[0:1], off offset:1600
	ds_load_b128 v[4:7], v8 offset:22080
	ds_load_b128 v[8:11], v8 offset:24640
	s_waitcnt vmcnt(0) lgkmcnt(1)
	v_mul_f64 v[14:15], v[6:7], v[2:3]
	v_mul_f64 v[2:3], v[4:5], v[2:3]
	s_delay_alu instid0(VALU_DEP_2) | instskip(NEXT) | instid1(VALU_DEP_2)
	v_fma_f64 v[4:5], v[4:5], v[0:1], v[14:15]
	v_fma_f64 v[2:3], v[0:1], v[6:7], -v[2:3]
	s_delay_alu instid0(VALU_DEP_2) | instskip(NEXT) | instid1(VALU_DEP_2)
	v_mul_f64 v[0:1], v[4:5], s[2:3]
	v_mul_f64 v[2:3], v[2:3], s[2:3]
	v_add_co_u32 v4, vcc_lo, v12, s6
	v_add_co_ci_u32_e32 v5, vcc_lo, s7, v13, vcc_lo
	v_add_co_u32 v6, vcc_lo, 0x6000, v252
	v_add_co_ci_u32_e32 v7, vcc_lo, 0, v253, vcc_lo
	global_store_b128 v[4:5], v[0:3], off
	global_load_b128 v[0:3], v[6:7], off offset:64
	v_add_co_u32 v4, vcc_lo, v4, s6
	v_add_co_ci_u32_e32 v5, vcc_lo, s7, v5, vcc_lo
	s_waitcnt vmcnt(0) lgkmcnt(0)
	v_mul_f64 v[6:7], v[10:11], v[2:3]
	v_mul_f64 v[2:3], v[8:9], v[2:3]
	s_delay_alu instid0(VALU_DEP_2) | instskip(NEXT) | instid1(VALU_DEP_2)
	v_fma_f64 v[6:7], v[8:9], v[0:1], v[6:7]
	v_fma_f64 v[2:3], v[0:1], v[10:11], -v[2:3]
	s_delay_alu instid0(VALU_DEP_2) | instskip(NEXT) | instid1(VALU_DEP_2)
	v_mul_f64 v[0:1], v[6:7], s[2:3]
	v_mul_f64 v[2:3], v[2:3], s[2:3]
	global_store_b128 v[4:5], v[0:3], off
.LBB0_23:
	s_nop 0
	s_sendmsg sendmsg(MSG_DEALLOC_VGPRS)
	s_endpgm
	.section	.rodata,"a",@progbits
	.p2align	6, 0x0
	.amdhsa_kernel bluestein_single_fwd_len1600_dim1_dp_op_CI_CI
		.amdhsa_group_segment_fixed_size 51200
		.amdhsa_private_segment_fixed_size 340
		.amdhsa_kernarg_size 104
		.amdhsa_user_sgpr_count 15
		.amdhsa_user_sgpr_dispatch_ptr 0
		.amdhsa_user_sgpr_queue_ptr 0
		.amdhsa_user_sgpr_kernarg_segment_ptr 1
		.amdhsa_user_sgpr_dispatch_id 0
		.amdhsa_user_sgpr_private_segment_size 0
		.amdhsa_wavefront_size32 1
		.amdhsa_uses_dynamic_stack 0
		.amdhsa_enable_private_segment 1
		.amdhsa_system_sgpr_workgroup_id_x 1
		.amdhsa_system_sgpr_workgroup_id_y 0
		.amdhsa_system_sgpr_workgroup_id_z 0
		.amdhsa_system_sgpr_workgroup_info 0
		.amdhsa_system_vgpr_workitem_id 0
		.amdhsa_next_free_vgpr 256
		.amdhsa_next_free_sgpr 23
		.amdhsa_reserve_vcc 1
		.amdhsa_float_round_mode_32 0
		.amdhsa_float_round_mode_16_64 0
		.amdhsa_float_denorm_mode_32 3
		.amdhsa_float_denorm_mode_16_64 3
		.amdhsa_dx10_clamp 1
		.amdhsa_ieee_mode 1
		.amdhsa_fp16_overflow 0
		.amdhsa_workgroup_processor_mode 1
		.amdhsa_memory_ordered 1
		.amdhsa_forward_progress 0
		.amdhsa_shared_vgpr_count 0
		.amdhsa_exception_fp_ieee_invalid_op 0
		.amdhsa_exception_fp_denorm_src 0
		.amdhsa_exception_fp_ieee_div_zero 0
		.amdhsa_exception_fp_ieee_overflow 0
		.amdhsa_exception_fp_ieee_underflow 0
		.amdhsa_exception_fp_ieee_inexact 0
		.amdhsa_exception_int_div_zero 0
	.end_amdhsa_kernel
	.text
.Lfunc_end0:
	.size	bluestein_single_fwd_len1600_dim1_dp_op_CI_CI, .Lfunc_end0-bluestein_single_fwd_len1600_dim1_dp_op_CI_CI
                                        ; -- End function
	.section	.AMDGPU.csdata,"",@progbits
; Kernel info:
; codeLenInByte = 24532
; NumSgprs: 25
; NumVgprs: 256
; ScratchSize: 340
; MemoryBound: 0
; FloatMode: 240
; IeeeMode: 1
; LDSByteSize: 51200 bytes/workgroup (compile time only)
; SGPRBlocks: 3
; VGPRBlocks: 31
; NumSGPRsForWavesPerEU: 25
; NumVGPRsForWavesPerEU: 256
; Occupancy: 4
; WaveLimiterHint : 1
; COMPUTE_PGM_RSRC2:SCRATCH_EN: 1
; COMPUTE_PGM_RSRC2:USER_SGPR: 15
; COMPUTE_PGM_RSRC2:TRAP_HANDLER: 0
; COMPUTE_PGM_RSRC2:TGID_X_EN: 1
; COMPUTE_PGM_RSRC2:TGID_Y_EN: 0
; COMPUTE_PGM_RSRC2:TGID_Z_EN: 0
; COMPUTE_PGM_RSRC2:TIDIG_COMP_CNT: 0
	.text
	.p2alignl 7, 3214868480
	.fill 96, 4, 3214868480
	.type	__hip_cuid_216a27e55500254,@object ; @__hip_cuid_216a27e55500254
	.section	.bss,"aw",@nobits
	.globl	__hip_cuid_216a27e55500254
__hip_cuid_216a27e55500254:
	.byte	0                               ; 0x0
	.size	__hip_cuid_216a27e55500254, 1

	.ident	"AMD clang version 19.0.0git (https://github.com/RadeonOpenCompute/llvm-project roc-6.4.0 25133 c7fe45cf4b819c5991fe208aaa96edf142730f1d)"
	.section	".note.GNU-stack","",@progbits
	.addrsig
	.addrsig_sym __hip_cuid_216a27e55500254
	.amdgpu_metadata
---
amdhsa.kernels:
  - .args:
      - .actual_access:  read_only
        .address_space:  global
        .offset:         0
        .size:           8
        .value_kind:     global_buffer
      - .actual_access:  read_only
        .address_space:  global
        .offset:         8
        .size:           8
        .value_kind:     global_buffer
      - .actual_access:  read_only
        .address_space:  global
        .offset:         16
        .size:           8
        .value_kind:     global_buffer
      - .actual_access:  read_only
        .address_space:  global
        .offset:         24
        .size:           8
        .value_kind:     global_buffer
      - .actual_access:  read_only
        .address_space:  global
        .offset:         32
        .size:           8
        .value_kind:     global_buffer
      - .offset:         40
        .size:           8
        .value_kind:     by_value
      - .address_space:  global
        .offset:         48
        .size:           8
        .value_kind:     global_buffer
      - .address_space:  global
        .offset:         56
        .size:           8
        .value_kind:     global_buffer
      - .address_space:  global
        .offset:         64
        .size:           8
        .value_kind:     global_buffer
      - .address_space:  global
        .offset:         72
        .size:           8
        .value_kind:     global_buffer
      - .offset:         80
        .size:           4
        .value_kind:     by_value
      - .address_space:  global
        .offset:         88
        .size:           8
        .value_kind:     global_buffer
      - .address_space:  global
        .offset:         96
        .size:           8
        .value_kind:     global_buffer
    .group_segment_fixed_size: 51200
    .kernarg_segment_align: 8
    .kernarg_segment_size: 104
    .language:       OpenCL C
    .language_version:
      - 2
      - 0
    .max_flat_workgroup_size: 200
    .name:           bluestein_single_fwd_len1600_dim1_dp_op_CI_CI
    .private_segment_fixed_size: 340
    .sgpr_count:     25
    .sgpr_spill_count: 0
    .symbol:         bluestein_single_fwd_len1600_dim1_dp_op_CI_CI.kd
    .uniform_work_group_size: 1
    .uses_dynamic_stack: false
    .vgpr_count:     256
    .vgpr_spill_count: 84
    .wavefront_size: 32
    .workgroup_processor_mode: 1
amdhsa.target:   amdgcn-amd-amdhsa--gfx1100
amdhsa.version:
  - 1
  - 2
...

	.end_amdgpu_metadata
